;; amdgpu-corpus repo=ROCm/rocFFT kind=compiled arch=gfx1201 opt=O3
	.text
	.amdgcn_target "amdgcn-amd-amdhsa--gfx1201"
	.amdhsa_code_object_version 6
	.protected	fft_rtc_back_len221_factors_17_13_wgs_119_tpt_17_halfLds_dp_ip_CI_sbrr_dirReg ; -- Begin function fft_rtc_back_len221_factors_17_13_wgs_119_tpt_17_halfLds_dp_ip_CI_sbrr_dirReg
	.globl	fft_rtc_back_len221_factors_17_13_wgs_119_tpt_17_halfLds_dp_ip_CI_sbrr_dirReg
	.p2align	8
	.type	fft_rtc_back_len221_factors_17_13_wgs_119_tpt_17_halfLds_dp_ip_CI_sbrr_dirReg,@function
fft_rtc_back_len221_factors_17_13_wgs_119_tpt_17_halfLds_dp_ip_CI_sbrr_dirReg: ; @fft_rtc_back_len221_factors_17_13_wgs_119_tpt_17_halfLds_dp_ip_CI_sbrr_dirReg
; %bb.0:
	s_clause 0x1
	s_load_b64 s[12:13], s[0:1], 0x18
	s_load_b128 s[4:7], s[0:1], 0x0
	v_mul_u32_u24_e32 v1, 0xf10, v0
	v_mov_b32_e32 v3, 0
	s_load_b64 s[10:11], s[0:1], 0x50
	s_wait_kmcnt 0x0
	s_load_b64 s[8:9], s[12:13], 0x0
	v_lshrrev_b32_e32 v1, 16, v1
	v_cmp_lt_u64_e64 s2, s[6:7], 2
	s_delay_alu instid0(VALU_DEP_2) | instskip(SKIP_2) | instid1(VALU_DEP_4)
	v_mad_co_u64_u32 v[56:57], null, ttmp9, 7, v[1:2]
	v_mov_b32_e32 v1, 0
	v_dual_mov_b32 v2, 0 :: v_dual_mov_b32 v57, v3
	s_and_b32 vcc_lo, exec_lo, s2
	s_delay_alu instid0(VALU_DEP_1)
	v_dual_mov_b32 v7, v56 :: v_dual_mov_b32 v8, v57
	s_cbranch_vccnz .LBB0_8
; %bb.1:
	s_load_b64 s[2:3], s[0:1], 0x10
	v_mov_b32_e32 v1, 0
	v_dual_mov_b32 v2, 0 :: v_dual_mov_b32 v5, v56
	v_mov_b32_e32 v6, v57
	s_add_nc_u64 s[14:15], s[12:13], 8
	s_mov_b64 s[16:17], 1
	s_wait_kmcnt 0x0
	s_add_nc_u64 s[18:19], s[2:3], 8
	s_mov_b32 s3, 0
.LBB0_2:                                ; =>This Inner Loop Header: Depth=1
	s_load_b64 s[20:21], s[18:19], 0x0
                                        ; implicit-def: $vgpr7_vgpr8
	s_mov_b32 s2, exec_lo
	s_wait_kmcnt 0x0
	v_or_b32_e32 v4, s21, v6
	s_delay_alu instid0(VALU_DEP_1)
	v_cmpx_ne_u64_e32 0, v[3:4]
	s_wait_alu 0xfffe
	s_xor_b32 s22, exec_lo, s2
	s_cbranch_execz .LBB0_4
; %bb.3:                                ;   in Loop: Header=BB0_2 Depth=1
	s_cvt_f32_u32 s2, s20
	s_cvt_f32_u32 s23, s21
	s_sub_nc_u64 s[26:27], 0, s[20:21]
	s_wait_alu 0xfffe
	s_delay_alu instid0(SALU_CYCLE_1) | instskip(SKIP_1) | instid1(SALU_CYCLE_2)
	s_fmamk_f32 s2, s23, 0x4f800000, s2
	s_wait_alu 0xfffe
	v_s_rcp_f32 s2, s2
	s_delay_alu instid0(TRANS32_DEP_1) | instskip(SKIP_1) | instid1(SALU_CYCLE_2)
	s_mul_f32 s2, s2, 0x5f7ffffc
	s_wait_alu 0xfffe
	s_mul_f32 s23, s2, 0x2f800000
	s_wait_alu 0xfffe
	s_delay_alu instid0(SALU_CYCLE_2) | instskip(SKIP_1) | instid1(SALU_CYCLE_2)
	s_trunc_f32 s23, s23
	s_wait_alu 0xfffe
	s_fmamk_f32 s2, s23, 0xcf800000, s2
	s_cvt_u32_f32 s25, s23
	s_wait_alu 0xfffe
	s_delay_alu instid0(SALU_CYCLE_1) | instskip(SKIP_1) | instid1(SALU_CYCLE_2)
	s_cvt_u32_f32 s24, s2
	s_wait_alu 0xfffe
	s_mul_u64 s[28:29], s[26:27], s[24:25]
	s_wait_alu 0xfffe
	s_mul_hi_u32 s31, s24, s29
	s_mul_i32 s30, s24, s29
	s_mul_hi_u32 s2, s24, s28
	s_mul_i32 s33, s25, s28
	s_wait_alu 0xfffe
	s_add_nc_u64 s[30:31], s[2:3], s[30:31]
	s_mul_hi_u32 s23, s25, s28
	s_mul_hi_u32 s34, s25, s29
	s_add_co_u32 s2, s30, s33
	s_wait_alu 0xfffe
	s_add_co_ci_u32 s2, s31, s23
	s_mul_i32 s28, s25, s29
	s_add_co_ci_u32 s29, s34, 0
	s_wait_alu 0xfffe
	s_add_nc_u64 s[28:29], s[2:3], s[28:29]
	s_wait_alu 0xfffe
	v_add_co_u32 v4, s2, s24, s28
	s_delay_alu instid0(VALU_DEP_1) | instskip(SKIP_1) | instid1(VALU_DEP_1)
	s_cmp_lg_u32 s2, 0
	s_add_co_ci_u32 s25, s25, s29
	v_readfirstlane_b32 s24, v4
	s_wait_alu 0xfffe
	s_delay_alu instid0(VALU_DEP_1)
	s_mul_u64 s[26:27], s[26:27], s[24:25]
	s_wait_alu 0xfffe
	s_mul_hi_u32 s29, s24, s27
	s_mul_i32 s28, s24, s27
	s_mul_hi_u32 s2, s24, s26
	s_mul_i32 s30, s25, s26
	s_wait_alu 0xfffe
	s_add_nc_u64 s[28:29], s[2:3], s[28:29]
	s_mul_hi_u32 s23, s25, s26
	s_mul_hi_u32 s24, s25, s27
	s_wait_alu 0xfffe
	s_add_co_u32 s2, s28, s30
	s_add_co_ci_u32 s2, s29, s23
	s_mul_i32 s26, s25, s27
	s_add_co_ci_u32 s27, s24, 0
	s_wait_alu 0xfffe
	s_add_nc_u64 s[26:27], s[2:3], s[26:27]
	s_wait_alu 0xfffe
	v_add_co_u32 v4, s2, v4, s26
	s_delay_alu instid0(VALU_DEP_1) | instskip(SKIP_1) | instid1(VALU_DEP_1)
	s_cmp_lg_u32 s2, 0
	s_add_co_ci_u32 s2, s25, s27
	v_mul_hi_u32 v13, v5, v4
	s_wait_alu 0xfffe
	v_mad_co_u64_u32 v[7:8], null, v5, s2, 0
	v_mad_co_u64_u32 v[9:10], null, v6, v4, 0
	;; [unrolled: 1-line block ×3, first 2 shown]
	s_delay_alu instid0(VALU_DEP_3) | instskip(SKIP_1) | instid1(VALU_DEP_4)
	v_add_co_u32 v4, vcc_lo, v13, v7
	s_wait_alu 0xfffd
	v_add_co_ci_u32_e32 v7, vcc_lo, 0, v8, vcc_lo
	s_delay_alu instid0(VALU_DEP_2) | instskip(SKIP_1) | instid1(VALU_DEP_2)
	v_add_co_u32 v4, vcc_lo, v4, v9
	s_wait_alu 0xfffd
	v_add_co_ci_u32_e32 v4, vcc_lo, v7, v10, vcc_lo
	s_wait_alu 0xfffd
	v_add_co_ci_u32_e32 v7, vcc_lo, 0, v12, vcc_lo
	s_delay_alu instid0(VALU_DEP_2) | instskip(SKIP_1) | instid1(VALU_DEP_2)
	v_add_co_u32 v4, vcc_lo, v4, v11
	s_wait_alu 0xfffd
	v_add_co_ci_u32_e32 v9, vcc_lo, 0, v7, vcc_lo
	s_delay_alu instid0(VALU_DEP_2) | instskip(SKIP_1) | instid1(VALU_DEP_3)
	v_mul_lo_u32 v10, s21, v4
	v_mad_co_u64_u32 v[7:8], null, s20, v4, 0
	v_mul_lo_u32 v11, s20, v9
	s_delay_alu instid0(VALU_DEP_2) | instskip(NEXT) | instid1(VALU_DEP_2)
	v_sub_co_u32 v7, vcc_lo, v5, v7
	v_add3_u32 v8, v8, v11, v10
	s_delay_alu instid0(VALU_DEP_1) | instskip(SKIP_1) | instid1(VALU_DEP_1)
	v_sub_nc_u32_e32 v10, v6, v8
	s_wait_alu 0xfffd
	v_subrev_co_ci_u32_e64 v10, s2, s21, v10, vcc_lo
	v_add_co_u32 v11, s2, v4, 2
	s_wait_alu 0xf1ff
	v_add_co_ci_u32_e64 v12, s2, 0, v9, s2
	v_sub_co_u32 v13, s2, v7, s20
	v_sub_co_ci_u32_e32 v8, vcc_lo, v6, v8, vcc_lo
	s_wait_alu 0xf1ff
	v_subrev_co_ci_u32_e64 v10, s2, 0, v10, s2
	s_delay_alu instid0(VALU_DEP_3) | instskip(NEXT) | instid1(VALU_DEP_3)
	v_cmp_le_u32_e32 vcc_lo, s20, v13
	v_cmp_eq_u32_e64 s2, s21, v8
	s_wait_alu 0xfffd
	v_cndmask_b32_e64 v13, 0, -1, vcc_lo
	v_cmp_le_u32_e32 vcc_lo, s21, v10
	s_wait_alu 0xfffd
	v_cndmask_b32_e64 v14, 0, -1, vcc_lo
	v_cmp_le_u32_e32 vcc_lo, s20, v7
	;; [unrolled: 3-line block ×3, first 2 shown]
	s_wait_alu 0xfffd
	v_cndmask_b32_e64 v15, 0, -1, vcc_lo
	v_cmp_eq_u32_e32 vcc_lo, s21, v10
	s_wait_alu 0xf1ff
	s_delay_alu instid0(VALU_DEP_2)
	v_cndmask_b32_e64 v7, v15, v7, s2
	s_wait_alu 0xfffd
	v_cndmask_b32_e32 v10, v14, v13, vcc_lo
	v_add_co_u32 v13, vcc_lo, v4, 1
	s_wait_alu 0xfffd
	v_add_co_ci_u32_e32 v14, vcc_lo, 0, v9, vcc_lo
	s_delay_alu instid0(VALU_DEP_3) | instskip(SKIP_2) | instid1(VALU_DEP_3)
	v_cmp_ne_u32_e32 vcc_lo, 0, v10
	s_wait_alu 0xfffd
	v_cndmask_b32_e32 v10, v13, v11, vcc_lo
	v_cndmask_b32_e32 v8, v14, v12, vcc_lo
	v_cmp_ne_u32_e32 vcc_lo, 0, v7
	s_wait_alu 0xfffd
	s_delay_alu instid0(VALU_DEP_2)
	v_dual_cndmask_b32 v7, v4, v10 :: v_dual_cndmask_b32 v8, v9, v8
.LBB0_4:                                ;   in Loop: Header=BB0_2 Depth=1
	s_wait_alu 0xfffe
	s_and_not1_saveexec_b32 s2, s22
	s_cbranch_execz .LBB0_6
; %bb.5:                                ;   in Loop: Header=BB0_2 Depth=1
	v_cvt_f32_u32_e32 v4, s20
	s_sub_co_i32 s22, 0, s20
	s_delay_alu instid0(VALU_DEP_1) | instskip(NEXT) | instid1(TRANS32_DEP_1)
	v_rcp_iflag_f32_e32 v4, v4
	v_mul_f32_e32 v4, 0x4f7ffffe, v4
	s_delay_alu instid0(VALU_DEP_1) | instskip(SKIP_1) | instid1(VALU_DEP_1)
	v_cvt_u32_f32_e32 v4, v4
	s_wait_alu 0xfffe
	v_mul_lo_u32 v7, s22, v4
	s_delay_alu instid0(VALU_DEP_1) | instskip(NEXT) | instid1(VALU_DEP_1)
	v_mul_hi_u32 v7, v4, v7
	v_add_nc_u32_e32 v4, v4, v7
	s_delay_alu instid0(VALU_DEP_1) | instskip(NEXT) | instid1(VALU_DEP_1)
	v_mul_hi_u32 v4, v5, v4
	v_mul_lo_u32 v7, v4, s20
	v_add_nc_u32_e32 v8, 1, v4
	s_delay_alu instid0(VALU_DEP_2) | instskip(NEXT) | instid1(VALU_DEP_1)
	v_sub_nc_u32_e32 v7, v5, v7
	v_subrev_nc_u32_e32 v9, s20, v7
	v_cmp_le_u32_e32 vcc_lo, s20, v7
	s_wait_alu 0xfffd
	s_delay_alu instid0(VALU_DEP_2) | instskip(NEXT) | instid1(VALU_DEP_1)
	v_dual_cndmask_b32 v7, v7, v9 :: v_dual_cndmask_b32 v4, v4, v8
	v_cmp_le_u32_e32 vcc_lo, s20, v7
	s_delay_alu instid0(VALU_DEP_2) | instskip(SKIP_1) | instid1(VALU_DEP_1)
	v_add_nc_u32_e32 v8, 1, v4
	s_wait_alu 0xfffd
	v_dual_cndmask_b32 v7, v4, v8 :: v_dual_mov_b32 v8, v3
.LBB0_6:                                ;   in Loop: Header=BB0_2 Depth=1
	s_wait_alu 0xfffe
	s_or_b32 exec_lo, exec_lo, s2
	s_load_b64 s[22:23], s[14:15], 0x0
	s_delay_alu instid0(VALU_DEP_1)
	v_mul_lo_u32 v4, v8, s20
	v_mul_lo_u32 v11, v7, s21
	v_mad_co_u64_u32 v[9:10], null, v7, s20, 0
	s_add_nc_u64 s[16:17], s[16:17], 1
	s_add_nc_u64 s[14:15], s[14:15], 8
	s_wait_alu 0xfffe
	v_cmp_ge_u64_e64 s2, s[16:17], s[6:7]
	s_add_nc_u64 s[18:19], s[18:19], 8
	s_delay_alu instid0(VALU_DEP_2) | instskip(NEXT) | instid1(VALU_DEP_3)
	v_add3_u32 v4, v10, v11, v4
	v_sub_co_u32 v5, vcc_lo, v5, v9
	s_wait_alu 0xfffd
	s_delay_alu instid0(VALU_DEP_2) | instskip(SKIP_3) | instid1(VALU_DEP_2)
	v_sub_co_ci_u32_e32 v4, vcc_lo, v6, v4, vcc_lo
	s_and_b32 vcc_lo, exec_lo, s2
	s_wait_kmcnt 0x0
	v_mul_lo_u32 v6, s23, v5
	v_mul_lo_u32 v4, s22, v4
	v_mad_co_u64_u32 v[1:2], null, s22, v5, v[1:2]
	s_delay_alu instid0(VALU_DEP_1)
	v_add3_u32 v2, v6, v2, v4
	s_wait_alu 0xfffe
	s_cbranch_vccnz .LBB0_8
; %bb.7:                                ;   in Loop: Header=BB0_2 Depth=1
	v_dual_mov_b32 v5, v7 :: v_dual_mov_b32 v6, v8
	s_branch .LBB0_2
.LBB0_8:
	s_lshl_b64 s[2:3], s[6:7], 3
	v_mul_hi_u32 v3, 0xf0f0f10, v0
	s_wait_alu 0xfffe
	s_add_nc_u64 s[2:3], s[12:13], s[2:3]
	v_mov_b32_e32 v96, 0
	s_load_b64 s[2:3], s[2:3], 0x0
	s_load_b64 s[0:1], s[0:1], 0x20
                                        ; implicit-def: $vgpr10_vgpr11
                                        ; implicit-def: $vgpr14_vgpr15
                                        ; implicit-def: $vgpr18_vgpr19
                                        ; implicit-def: $vgpr26_vgpr27
                                        ; implicit-def: $vgpr30_vgpr31
                                        ; implicit-def: $vgpr42_vgpr43
                                        ; implicit-def: $vgpr22_vgpr23
                                        ; implicit-def: $vgpr34_vgpr35
                                        ; implicit-def: $vgpr38_vgpr39
                                        ; implicit-def: $vgpr50_vgpr51
                                        ; implicit-def: $vgpr46_vgpr47
                                        ; implicit-def: $vgpr54_vgpr55
                                        ; implicit-def: $vgpr66_vgpr67
                                        ; implicit-def: $vgpr82_vgpr83
                                        ; implicit-def: $vgpr90_vgpr91
	s_wait_kmcnt 0x0
	v_mul_lo_u32 v4, s2, v8
	v_mul_lo_u32 v5, s3, v7
	v_mad_co_u64_u32 v[92:93], null, s2, v7, v[1:2]
	v_mul_u32_u24_e32 v1, 17, v3
	v_cmp_gt_u64_e32 vcc_lo, s[0:1], v[7:8]
                                        ; implicit-def: $vgpr6_vgpr7
                                        ; implicit-def: $vgpr2_vgpr3
	s_delay_alu instid0(VALU_DEP_2) | instskip(NEXT) | instid1(VALU_DEP_4)
	v_sub_nc_u32_e32 v97, v0, v1
	v_add3_u32 v93, v5, v93, v4
	s_and_saveexec_b32 s1, vcc_lo
	s_cbranch_execz .LBB0_12
; %bb.9:
	s_mov_b32 s2, exec_lo
                                        ; implicit-def: $vgpr0_vgpr1
                                        ; implicit-def: $vgpr88_vgpr89
                                        ; implicit-def: $vgpr80_vgpr81
                                        ; implicit-def: $vgpr64_vgpr65
                                        ; implicit-def: $vgpr52_vgpr53
                                        ; implicit-def: $vgpr44_vgpr45
                                        ; implicit-def: $vgpr48_vgpr49
                                        ; implicit-def: $vgpr36_vgpr37
                                        ; implicit-def: $vgpr32_vgpr33
                                        ; implicit-def: $vgpr20_vgpr21
                                        ; implicit-def: $vgpr40_vgpr41
                                        ; implicit-def: $vgpr28_vgpr29
                                        ; implicit-def: $vgpr24_vgpr25
                                        ; implicit-def: $vgpr16_vgpr17
                                        ; implicit-def: $vgpr12_vgpr13
                                        ; implicit-def: $vgpr8_vgpr9
                                        ; implicit-def: $vgpr4_vgpr5
	v_cmpx_gt_u32_e32 13, v97
	s_cbranch_execz .LBB0_11
; %bb.10:
	v_add_nc_u32_e32 v7, 13, v97
	v_mad_co_u64_u32 v[0:1], null, s8, v97, 0
	v_add_nc_u32_e32 v18, 0x4e, v97
	v_add_nc_u32_e32 v24, 0xb6, v97
	s_delay_alu instid0(VALU_DEP_4)
	v_mad_co_u64_u32 v[2:3], null, s8, v7, 0
	v_add_nc_u32_e32 v12, 26, v97
	v_or_b32_e32 v58, 0xd0, v97
	v_add_nc_u32_e32 v21, 0x68, v97
	v_add_nc_u32_e32 v57, 0xc3, v97
	v_mad_co_u64_u32 v[4:5], null, s9, v97, v[1:2]
	v_dual_mov_b32 v1, v3 :: v_dual_add_nc_u32 v14, 39, v97
	v_mad_co_u64_u32 v[5:6], null, s8, v12, 0
	s_delay_alu instid0(VALU_DEP_2) | instskip(NEXT) | instid1(VALU_DEP_4)
	v_mad_co_u64_u32 v[7:8], null, s9, v7, v[1:2]
	v_mov_b32_e32 v1, v4
	v_lshlrev_b64_e32 v[8:9], 4, v[92:93]
	v_add_nc_u32_e32 v16, 52, v97
	v_mad_co_u64_u32 v[10:11], null, s8, v14, 0
	s_delay_alu instid0(VALU_DEP_4)
	v_lshlrev_b64_e32 v[0:1], 4, v[0:1]
	v_mov_b32_e32 v3, v7
	v_add_co_u32 v26, s0, s10, v8
	v_mov_b32_e32 v4, v6
	s_wait_alu 0xf1ff
	v_add_co_ci_u32_e64 v27, s0, s11, v9, s0
	v_lshlrev_b64_e32 v[2:3], 4, v[2:3]
	v_add_co_u32 v0, s0, v26, v0
	v_mad_co_u64_u32 v[6:7], null, s9, v12, v[4:5]
	s_wait_alu 0xf1ff
	v_add_co_ci_u32_e64 v1, s0, v27, v1, s0
	s_delay_alu instid0(VALU_DEP_4) | instskip(SKIP_4) | instid1(VALU_DEP_3)
	v_add_co_u32 v7, s0, v26, v2
	v_mov_b32_e32 v2, v11
	v_mad_co_u64_u32 v[12:13], null, s8, v16, 0
	s_wait_alu 0xf1ff
	v_add_co_ci_u32_e64 v8, s0, v27, v3, s0
	v_mad_co_u64_u32 v[14:15], null, s9, v14, v[2:3]
	v_add_nc_u32_e32 v15, 0x41, v97
	s_clause 0x1
	global_load_b128 v[0:3], v[0:1], off
	global_load_b128 v[88:91], v[7:8], off
	v_lshlrev_b64_e32 v[4:5], 4, v[5:6]
	v_mov_b32_e32 v6, v13
	v_mad_co_u64_u32 v[7:8], null, s8, v15, 0
	v_mov_b32_e32 v11, v14
	s_delay_alu instid0(VALU_DEP_4) | instskip(SKIP_2) | instid1(VALU_DEP_4)
	v_add_co_u32 v4, s0, v26, v4
	s_wait_alu 0xf1ff
	v_add_co_ci_u32_e64 v5, s0, v27, v5, s0
	v_mad_co_u64_u32 v[13:14], null, s9, v16, v[6:7]
	v_mov_b32_e32 v6, v8
	v_lshlrev_b64_e32 v[8:9], 4, v[10:11]
	s_delay_alu instid0(VALU_DEP_2) | instskip(SKIP_1) | instid1(VALU_DEP_3)
	v_mad_co_u64_u32 v[10:11], null, s9, v15, v[6:7]
	v_mad_co_u64_u32 v[14:15], null, s8, v18, 0
	v_add_co_u32 v16, s0, v26, v8
	s_wait_alu 0xf1ff
	s_delay_alu instid0(VALU_DEP_4) | instskip(NEXT) | instid1(VALU_DEP_4)
	v_add_co_ci_u32_e64 v17, s0, v27, v9, s0
	v_mov_b32_e32 v8, v10
	v_lshlrev_b64_e32 v[9:10], 4, v[12:13]
	v_mov_b32_e32 v6, v15
	s_delay_alu instid0(VALU_DEP_3) | instskip(NEXT) | instid1(VALU_DEP_3)
	v_lshlrev_b64_e32 v[7:8], 4, v[7:8]
	v_add_co_u32 v9, s0, v26, v9
	s_wait_alu 0xf1ff
	s_delay_alu instid0(VALU_DEP_4) | instskip(NEXT) | instid1(VALU_DEP_3)
	v_add_co_ci_u32_e64 v10, s0, v27, v10, s0
	v_mad_co_u64_u32 v[18:19], null, s9, v18, v[6:7]
	v_add_nc_u32_e32 v20, 0x5b, v97
	v_add_co_u32 v7, s0, v26, v7
	s_wait_alu 0xf1ff
	v_add_co_ci_u32_e64 v8, s0, v27, v8, s0
	s_clause 0x3
	global_load_b128 v[80:83], v[4:5], off
	global_load_b128 v[64:67], v[16:17], off
	;; [unrolled: 1-line block ×4, first 2 shown]
	v_mov_b32_e32 v15, v18
	v_mad_co_u64_u32 v[11:12], null, s8, v20, 0
	v_mad_co_u64_u32 v[18:19], null, s8, v21, 0
	v_add_nc_u32_e32 v16, 0x75, v97
	s_delay_alu instid0(VALU_DEP_4) | instskip(NEXT) | instid1(VALU_DEP_4)
	v_lshlrev_b64_e32 v[4:5], 4, v[14:15]
	v_dual_mov_b32 v6, v12 :: v_dual_add_nc_u32 v17, 0x82, v97
	s_delay_alu instid0(VALU_DEP_2) | instskip(NEXT) | instid1(VALU_DEP_2)
	v_add_co_u32 v4, s0, v26, v4
	v_mad_co_u64_u32 v[12:13], null, s9, v20, v[6:7]
	v_mad_co_u64_u32 v[7:8], null, s8, v16, 0
	v_mov_b32_e32 v6, v19
	s_wait_alu 0xf1ff
	v_add_co_ci_u32_e64 v5, s0, v27, v5, s0
	v_add_nc_u32_e32 v20, 0x8f, v97
	v_lshlrev_b64_e32 v[9:10], 4, v[11:12]
	v_mad_co_u64_u32 v[11:12], null, s9, v21, v[6:7]
	v_mov_b32_e32 v6, v8
	v_mad_co_u64_u32 v[12:13], null, s8, v17, 0
	s_delay_alu instid0(VALU_DEP_4)
	v_add_co_u32 v8, s0, v26, v9
	s_wait_alu 0xf1ff
	v_add_co_ci_u32_e64 v9, s0, v27, v10, s0
	v_mov_b32_e32 v19, v11
	v_mad_co_u64_u32 v[10:11], null, s9, v16, v[6:7]
	v_mad_co_u64_u32 v[14:15], null, s8, v20, 0
	v_mov_b32_e32 v6, v13
	s_clause 0x1
	global_load_b128 v[48:51], v[4:5], off
	global_load_b128 v[36:39], v[8:9], off
	v_lshlrev_b64_e32 v[4:5], 4, v[18:19]
	v_add_nc_u32_e32 v18, 0xa9, v97
	v_mov_b32_e32 v8, v10
	v_mad_co_u64_u32 v[16:17], null, s9, v17, v[6:7]
	v_mov_b32_e32 v6, v15
	v_add_co_u32 v4, s0, v26, v4
	s_delay_alu instid0(VALU_DEP_4) | instskip(SKIP_3) | instid1(VALU_DEP_3)
	v_lshlrev_b64_e32 v[7:8], 4, v[7:8]
	s_wait_alu 0xf1ff
	v_add_co_ci_u32_e64 v5, s0, v27, v5, s0
	v_dual_mov_b32 v13, v16 :: v_dual_add_nc_u32 v16, 0x9c, v97
	v_mad_co_u64_u32 v[9:10], null, s9, v20, v[6:7]
	s_delay_alu instid0(VALU_DEP_2) | instskip(NEXT) | instid1(VALU_DEP_3)
	v_lshlrev_b64_e32 v[10:11], 4, v[12:13]
	v_mad_co_u64_u32 v[12:13], null, s8, v16, 0
	v_add_co_u32 v6, s0, v26, v7
	s_wait_alu 0xf1ff
	v_add_co_ci_u32_e64 v7, s0, v27, v8, s0
	v_mov_b32_e32 v15, v9
	s_clause 0x1
	global_load_b128 v[32:35], v[4:5], off
	global_load_b128 v[20:23], v[6:7], off
	v_mov_b32_e32 v6, v13
	v_add_co_u32 v4, s0, v26, v10
	v_lshlrev_b64_e32 v[7:8], 4, v[14:15]
	s_wait_alu 0xf1ff
	v_add_co_ci_u32_e64 v5, s0, v27, v11, s0
	v_mad_co_u64_u32 v[14:15], null, s8, v24, 0
	s_delay_alu instid0(VALU_DEP_3) | instskip(SKIP_4) | instid1(VALU_DEP_4)
	v_mad_co_u64_u32 v[9:10], null, s9, v16, v[6:7]
	v_mad_co_u64_u32 v[10:11], null, s8, v18, 0
	v_add_co_u32 v6, s0, v26, v7
	s_wait_alu 0xf1ff
	v_add_co_ci_u32_e64 v7, s0, v27, v8, s0
	v_mov_b32_e32 v13, v9
	s_delay_alu instid0(VALU_DEP_4)
	v_dual_mov_b32 v9, v15 :: v_dual_mov_b32 v8, v11
	v_mad_co_u64_u32 v[16:17], null, s8, v57, 0
	s_clause 0x1
	global_load_b128 v[40:43], v[4:5], off
	global_load_b128 v[28:31], v[6:7], off
	v_lshlrev_b64_e32 v[5:6], 4, v[12:13]
	v_mad_co_u64_u32 v[18:19], null, s9, v18, v[8:9]
	v_mad_co_u64_u32 v[8:9], null, s9, v24, v[9:10]
	;; [unrolled: 1-line block ×3, first 2 shown]
	s_delay_alu instid0(VALU_DEP_3) | instskip(NEXT) | instid1(VALU_DEP_3)
	v_dual_mov_b32 v4, v17 :: v_dual_mov_b32 v11, v18
	v_mov_b32_e32 v15, v8
	s_delay_alu instid0(VALU_DEP_2) | instskip(NEXT) | instid1(VALU_DEP_4)
	v_mad_co_u64_u32 v[7:8], null, s9, v57, v[4:5]
	v_mov_b32_e32 v4, v25
	v_add_co_u32 v5, s0, v26, v5
	v_lshlrev_b64_e32 v[8:9], 4, v[10:11]
	s_wait_alu 0xf1ff
	v_add_co_ci_u32_e64 v6, s0, v27, v6, s0
	s_delay_alu instid0(VALU_DEP_3)
	v_mad_co_u64_u32 v[10:11], null, s9, v58, v[4:5]
	v_lshlrev_b64_e32 v[11:12], 4, v[14:15]
	v_mov_b32_e32 v17, v7
	v_add_co_u32 v7, s0, v26, v8
	s_wait_alu 0xf1ff
	v_add_co_ci_u32_e64 v8, s0, v27, v9, s0
	v_mov_b32_e32 v25, v10
	v_lshlrev_b64_e32 v[13:14], 4, v[16:17]
	v_add_co_u32 v9, s0, v26, v11
	s_wait_alu 0xf1ff
	v_add_co_ci_u32_e64 v10, s0, v27, v12, s0
	v_lshlrev_b64_e32 v[11:12], 4, v[24:25]
	s_delay_alu instid0(VALU_DEP_4) | instskip(SKIP_2) | instid1(VALU_DEP_3)
	v_add_co_u32 v57, s0, v26, v13
	s_wait_alu 0xf1ff
	v_add_co_ci_u32_e64 v58, s0, v27, v14, s0
	v_add_co_u32 v59, s0, v26, v11
	s_wait_alu 0xf1ff
	v_add_co_ci_u32_e64 v60, s0, v27, v12, s0
	s_clause 0x4
	global_load_b128 v[24:27], v[5:6], off
	global_load_b128 v[16:19], v[7:8], off
	;; [unrolled: 1-line block ×5, first 2 shown]
.LBB0_11:
	s_wait_alu 0xfffe
	s_or_b32 exec_lo, exec_lo, s2
	v_mov_b32_e32 v96, v97
.LBB0_12:
	s_wait_alu 0xfffe
	s_or_b32 exec_lo, exec_lo, s1
	v_mul_hi_u32 v57, 0x24924925, v56
	v_cmp_gt_u32_e64 s0, 13, v97
	s_delay_alu instid0(VALU_DEP_2) | instskip(NEXT) | instid1(VALU_DEP_1)
	v_sub_nc_u32_e32 v58, v56, v57
	v_lshrrev_b32_e32 v58, 1, v58
	s_delay_alu instid0(VALU_DEP_1) | instskip(NEXT) | instid1(VALU_DEP_1)
	v_add_nc_u32_e32 v57, v58, v57
	v_lshrrev_b32_e32 v57, 2, v57
	s_delay_alu instid0(VALU_DEP_1) | instskip(NEXT) | instid1(VALU_DEP_1)
	v_mul_lo_u32 v57, v57, 7
	v_sub_nc_u32_e32 v56, v56, v57
	s_delay_alu instid0(VALU_DEP_1) | instskip(NEXT) | instid1(VALU_DEP_1)
	v_mul_u32_u24_e32 v56, 0xdd, v56
	v_lshlrev_b32_e32 v98, 3, v56
	s_and_saveexec_b32 s1, s0
	s_cbranch_execz .LBB0_14
; %bb.13:
	s_wait_loadcnt 0xf
	v_add_f64_e32 v[56:57], v[88:89], v[0:1]
	s_wait_loadcnt 0x0
	v_add_f64_e32 v[58:59], v[4:5], v[88:89]
	s_mov_b32 s42, 0x910ea3b9
	s_mov_b32 s52, 0xc61f0d01
	;; [unrolled: 1-line block ×9, first 2 shown]
	v_add_f64_e32 v[60:61], v[8:9], v[80:81]
	v_add_f64_e64 v[62:63], v[90:91], -v[6:7]
	s_mov_b32 s47, 0xbfef7484
	s_mov_b32 s44, 0x2b2883cd
	;; [unrolled: 1-line block ×16, first 2 shown]
	s_wait_alu 0xfffe
	s_mov_b32 s6, s2
	s_mov_b32 s30, s20
	;; [unrolled: 1-line block ×6, first 2 shown]
	v_add_f64_e64 v[68:69], v[82:83], -v[10:11]
	s_mov_b32 s17, 0x3fc7851a
	s_mov_b32 s19, 0xbfc7851a
	v_add_f64_e32 v[56:57], v[80:81], v[56:57]
	v_mul_f64_e32 v[107:108], s[42:43], v[58:59]
	v_mul_f64_e32 v[109:110], s[52:53], v[58:59]
	;; [unrolled: 1-line block ×8, first 2 shown]
	v_add_f64_e32 v[70:71], v[12:13], v[64:65]
	s_wait_alu 0xfffe
	s_mov_b32 s18, s16
	v_mul_f64_e32 v[117:118], s[44:45], v[60:61]
	v_mul_f64_e32 v[119:120], s[52:53], v[60:61]
	;; [unrolled: 1-line block ×8, first 2 shown]
	s_mov_b32 s12, 0x7c9e640b
	s_mov_b32 s34, 0x2a9d6da3
	;; [unrolled: 1-line block ×13, first 2 shown]
	s_wait_alu 0xfffe
	s_mov_b32 s36, s28
	v_add_f64_e64 v[72:73], v[66:67], -v[14:15]
	v_add_f64_e32 v[74:75], v[16:17], v[52:53]
	v_add_f64_e64 v[76:77], v[54:55], -v[18:19]
	v_add_f64_e32 v[78:79], v[24:25], v[44:45]
	;; [unrolled: 2-line block ×3, first 2 shown]
	v_fma_f64 v[171:172], v[62:63], s[6:7], v[107:108]
	v_fma_f64 v[173:174], v[62:63], s[30:31], v[109:110]
	;; [unrolled: 1-line block ×16, first 2 shown]
	v_mul_f64_e32 v[129:130], s[48:49], v[70:71]
	v_mul_f64_e32 v[131:132], s[50:51], v[70:71]
	;; [unrolled: 1-line block ×8, first 2 shown]
	v_fma_f64 v[193:194], v[68:69], s[22:23], v[117:118]
	v_fma_f64 v[195:196], v[68:69], s[20:21], v[119:120]
	;; [unrolled: 1-line block ×13, first 2 shown]
	v_add_f64_e32 v[56:57], v[52:53], v[56:57]
	v_fma_f64 v[165:166], v[68:69], s[26:27], v[165:166]
	v_fma_f64 v[207:208], v[68:69], s[38:39], v[60:61]
	;; [unrolled: 1-line block ×3, first 2 shown]
	v_add_f64_e32 v[68:69], v[0:1], v[171:172]
	v_add_f64_e32 v[171:172], v[0:1], v[173:174]
	;; [unrolled: 1-line block ×16, first 2 shown]
	v_mul_f64_e32 v[137:138], s[56:57], v[74:75]
	v_mul_f64_e32 v[139:140], s[42:43], v[74:75]
	;; [unrolled: 1-line block ×8, first 2 shown]
	v_fma_f64 v[213:214], v[72:73], s[26:27], v[129:130]
	v_fma_f64 v[215:216], v[72:73], s[28:29], v[131:132]
	v_fma_f64 v[217:218], v[72:73], s[38:39], v[133:134]
	v_fma_f64 v[219:220], v[72:73], s[20:21], v[135:136]
	v_fma_f64 v[221:222], v[72:73], s[2:3], v[187:188]
	v_fma_f64 v[187:188], v[72:73], s[6:7], v[187:188]
	v_fma_f64 v[129:130], v[72:73], s[40:41], v[129:130]
	v_fma_f64 v[131:132], v[72:73], s[36:37], v[131:132]
	v_fma_f64 v[133:134], v[72:73], s[34:35], v[133:134]
	v_fma_f64 v[135:136], v[72:73], s[30:31], v[135:136]
	v_add_f64_e32 v[56:57], v[44:45], v[56:57]
	v_fma_f64 v[223:224], v[72:73], s[18:19], v[189:190]
	v_fma_f64 v[189:190], v[72:73], s[16:17], v[189:190]
	;; [unrolled: 1-line block ×6, first 2 shown]
	v_add_f64_e32 v[72:73], v[197:198], v[171:172]
	v_add_f64_e32 v[171:172], v[199:200], v[173:174]
	;; [unrolled: 1-line block ×17, first 2 shown]
	v_mul_f64_e32 v[151:152], s[46:47], v[78:79]
	v_mul_f64_e32 v[153:154], s[44:45], v[78:79]
	v_fma_f64 v[165:166], v[76:77], s[14:15], v[137:138]
	v_fma_f64 v[177:178], v[76:77], s[6:7], v[139:140]
	;; [unrolled: 1-line block ×12, first 2 shown]
	v_add_f64_e32 v[56:57], v[48:49], v[56:57]
	v_fma_f64 v[197:198], v[76:77], s[16:17], v[211:212]
	v_fma_f64 v[199:200], v[76:77], s[18:19], v[211:212]
	v_fma_f64 v[201:202], v[76:77], s[26:27], v[74:75]
	v_fma_f64 v[74:75], v[76:77], s[40:41], v[74:75]
	v_mul_f64_e32 v[145:146], s[50:51], v[78:79]
	v_mul_f64_e32 v[147:148], s[48:49], v[78:79]
	v_add_f64_e32 v[72:73], v[217:218], v[72:73]
	v_add_f64_e32 v[76:77], v[219:220], v[171:172]
	v_mul_f64_e32 v[127:128], s[56:57], v[78:79]
	v_mul_f64_e32 v[149:150], s[54:55], v[78:79]
	;; [unrolled: 1-line block ×4, first 2 shown]
	v_add_f64_e32 v[68:69], v[213:214], v[68:69]
	v_add_f64_e32 v[171:172], v[215:216], v[173:174]
	;; [unrolled: 1-line block ×14, first 2 shown]
	v_add_f64_e64 v[94:95], v[50:51], -v[30:31]
	v_add_f64_e32 v[99:100], v[40:41], v[36:37]
	v_mul_f64_e32 v[159:160], s[48:49], v[86:87]
	v_mul_f64_e32 v[163:164], s[42:43], v[86:87]
	v_fma_f64 v[187:188], v[84:85], s[18:19], v[151:152]
	v_fma_f64 v[189:190], v[84:85], s[12:13], v[153:154]
	v_mul_f64_e32 v[155:156], s[46:47], v[86:87]
	v_mul_f64_e32 v[157:158], s[54:55], v[86:87]
	v_fma_f64 v[151:152], v[84:85], s[16:17], v[151:152]
	v_fma_f64 v[153:154], v[84:85], s[22:23], v[153:154]
	v_mul_f64_e32 v[129:130], s[44:45], v[86:87]
	v_add_f64_e32 v[56:57], v[36:37], v[56:57]
	v_mul_f64_e32 v[131:132], s[50:51], v[86:87]
	v_mul_f64_e32 v[133:134], s[52:53], v[86:87]
	;; [unrolled: 1-line block ×3, first 2 shown]
	v_add_f64_e64 v[101:102], v[38:39], -v[42:43]
	v_fma_f64 v[135:136], v[84:85], s[28:29], v[145:146]
	v_fma_f64 v[175:176], v[84:85], s[40:41], v[147:148]
	v_add_f64_e32 v[72:73], v[179:180], v[72:73]
	v_add_f64_e32 v[76:77], v[181:182], v[76:77]
	v_fma_f64 v[191:192], v[84:85], s[14:15], v[127:128]
	v_fma_f64 v[127:128], v[84:85], s[24:25], v[127:128]
	;; [unrolled: 1-line block ×10, first 2 shown]
	v_add_f64_e32 v[68:69], v[165:166], v[68:69]
	v_add_f64_e32 v[84:85], v[177:178], v[171:172]
	;; [unrolled: 1-line block ×15, first 2 shown]
	v_mul_f64_e32 v[62:63], s[50:51], v[99:100]
	v_mul_f64_e32 v[58:59], s[56:57], v[99:100]
	v_fma_f64 v[173:174], v[94:95], s[40:41], v[159:160]
	v_fma_f64 v[177:178], v[94:95], s[6:7], v[163:164]
	v_add_f64_e32 v[56:57], v[32:33], v[56:57]
	v_mul_f64_e32 v[167:168], s[54:55], v[99:100]
	v_mul_f64_e32 v[169:170], s[46:47], v[99:100]
	v_fma_f64 v[143:144], v[94:95], s[18:19], v[155:156]
	v_fma_f64 v[171:172], v[94:95], s[34:35], v[157:158]
	v_mul_f64_e32 v[137:138], s[52:53], v[99:100]
	v_mul_f64_e32 v[139:140], s[48:49], v[99:100]
	v_add_f64_e32 v[72:73], v[187:188], v[72:73]
	v_add_f64_e32 v[76:77], v[189:190], v[76:77]
	v_mul_f64_e32 v[141:142], s[44:45], v[99:100]
	v_mul_f64_e32 v[99:100], s[42:43], v[99:100]
	v_fma_f64 v[179:180], v[94:95], s[12:13], v[129:130]
	v_fma_f64 v[129:130], v[94:95], s[22:23], v[129:130]
	;; [unrolled: 1-line block ×8, first 2 shown]
	v_add_f64_e32 v[68:69], v[135:136], v[68:69]
	v_add_f64_e32 v[84:85], v[175:176], v[84:85]
	v_fma_f64 v[183:184], v[94:95], s[30:31], v[133:134]
	v_fma_f64 v[133:134], v[94:95], s[20:21], v[133:134]
	;; [unrolled: 1-line block ×4, first 2 shown]
	v_add_f64_e32 v[94:95], v[191:192], v[165:166]
	v_add_f64_e32 v[115:116], v[127:128], v[115:116]
	;; [unrolled: 1-line block ×12, first 2 shown]
	v_add_f64_e64 v[105:106], v[34:35], -v[22:23]
	v_add_f64_e32 v[56:57], v[20:21], v[56:57]
	v_mul_f64_e32 v[123:124], s[56:57], v[103:104]
	v_mul_f64_e32 v[74:75], s[54:55], v[103:104]
	v_fma_f64 v[151:152], v[101:102], s[28:29], v[62:63]
	v_fma_f64 v[153:154], v[101:102], s[14:15], v[58:59]
	v_mul_f64_e32 v[125:126], s[52:53], v[103:104]
	v_mul_f64_e32 v[78:79], s[44:45], v[103:104]
	v_add_f64_e32 v[72:73], v[173:174], v[72:73]
	v_add_f64_e32 v[76:77], v[177:178], v[76:77]
	v_fma_f64 v[147:148], v[101:102], s[38:39], v[167:168]
	v_fma_f64 v[149:150], v[101:102], s[18:19], v[169:170]
	v_mul_f64_e32 v[127:128], s[48:49], v[103:104]
	v_fma_f64 v[161:162], v[101:102], s[20:21], v[137:138]
	v_fma_f64 v[137:138], v[101:102], s[30:31], v[137:138]
	v_fma_f64 v[165:166], v[101:102], s[34:35], v[167:168]
	v_fma_f64 v[167:168], v[101:102], s[16:17], v[169:170]
	v_fma_f64 v[62:63], v[101:102], s[36:37], v[62:63]
	v_fma_f64 v[58:59], v[101:102], s[24:25], v[58:59]
	v_fma_f64 v[169:170], v[101:102], s[40:41], v[139:140]
	v_add_f64_e32 v[68:69], v[143:144], v[68:69]
	v_add_f64_e32 v[84:85], v[171:172], v[84:85]
	v_fma_f64 v[139:140], v[101:102], s[26:27], v[139:140]
	v_fma_f64 v[175:176], v[101:102], s[12:13], v[141:142]
	;; [unrolled: 1-line block ×5, first 2 shown]
	v_add_f64_e32 v[94:95], v[179:180], v[94:95]
	v_add_f64_e32 v[101:102], v[129:130], v[115:116]
	v_mul_f64_e32 v[135:136], s[42:43], v[103:104]
	v_mul_f64_e32 v[145:146], s[50:51], v[103:104]
	;; [unrolled: 1-line block ×3, first 2 shown]
	v_add_f64_e32 v[107:108], v[155:156], v[107:108]
	v_add_f64_e32 v[113:114], v[157:158], v[113:114]
	;; [unrolled: 1-line block ×11, first 2 shown]
	v_fma_f64 v[121:122], v[105:106], s[24:25], v[123:124]
	v_fma_f64 v[129:130], v[105:106], s[38:39], v[74:75]
	;; [unrolled: 1-line block ×3, first 2 shown]
	v_add_f64_e32 v[72:73], v[151:152], v[72:73]
	v_add_f64_e32 v[76:77], v[153:154], v[76:77]
	v_fma_f64 v[131:132], v[105:106], s[22:23], v[78:79]
	v_fma_f64 v[125:126], v[105:106], s[20:21], v[125:126]
	;; [unrolled: 1-line block ×7, first 2 shown]
	v_add_f64_e32 v[68:69], v[147:148], v[68:69]
	v_add_f64_e32 v[84:85], v[149:150], v[84:85]
	;; [unrolled: 1-line block ×4, first 2 shown]
	v_fma_f64 v[143:144], v[105:106], s[2:3], v[135:136]
	v_fma_f64 v[135:136], v[105:106], s[6:7], v[135:136]
	;; [unrolled: 1-line block ×6, first 2 shown]
	v_add_f64_e32 v[105:106], v[165:166], v[107:108]
	v_add_f64_e32 v[107:108], v[167:168], v[113:114]
	;; [unrolled: 1-line block ×28, first 2 shown]
	v_mul_u32_u24_e32 v103, 0x88, v97
	s_delay_alu instid0(VALU_DEP_1) | instskip(SKIP_1) | instid1(VALU_DEP_1)
	v_add3_u32 v103, 0, v103, v98
	v_add_f64_e32 v[56:57], v[16:17], v[56:57]
	v_add_f64_e32 v[56:57], v[12:13], v[56:57]
	s_delay_alu instid0(VALU_DEP_1) | instskip(NEXT) | instid1(VALU_DEP_1)
	v_add_f64_e32 v[56:57], v[8:9], v[56:57]
	v_add_f64_e32 v[56:57], v[4:5], v[56:57]
	ds_store_2addr_b64 v103, v[76:77], v[72:73] offset0:4 offset1:5
	ds_store_2addr_b64 v103, v[84:85], v[68:69] offset0:6 offset1:7
	;; [unrolled: 1-line block ×6, first 2 shown]
	ds_store_2addr_b64 v103, v[56:57], v[60:61] offset1:1
	ds_store_2addr_b64 v103, v[70:71], v[101:102] offset0:2 offset1:3
	ds_store_b64 v103, v[0:1] offset:128
.LBB0_14:
	s_wait_alu 0xfffe
	s_or_b32 exec_lo, exec_lo, s1
	s_wait_loadcnt 0x10
	v_lshlrev_b32_e32 v1, 3, v97
	global_wb scope:SCOPE_SE
	s_wait_loadcnt_dscnt 0x0
	s_barrier_signal -1
	s_barrier_wait -1
	global_inv scope:SCOPE_SE
	v_add_nc_u32_e32 v0, 0, v1
	v_add3_u32 v99, 0, v98, v1
	s_delay_alu instid0(VALU_DEP_2)
	v_add_nc_u32_e32 v100, v0, v98
	ds_load_b64 v[94:95], v99
	ds_load_2addr_b64 v[60:63], v100 offset0:17 offset1:34
	ds_load_2addr_b64 v[84:87], v100 offset0:51 offset1:68
	;; [unrolled: 1-line block ×6, first 2 shown]
	global_wb scope:SCOPE_SE
	s_wait_dscnt 0x0
	s_barrier_signal -1
	s_barrier_wait -1
	global_inv scope:SCOPE_SE
	s_and_saveexec_b32 s33, s0
	s_cbranch_execz .LBB0_16
; %bb.15:
	v_add_f64_e32 v[101:102], v[90:91], v[2:3]
	v_add_f64_e64 v[4:5], v[88:89], -v[4:5]
	v_add_f64_e64 v[8:9], v[80:81], -v[8:9]
	s_mov_b32 s26, 0x5d8e7cdc
	s_mov_b32 s36, 0x2a9d6da3
	;; [unrolled: 1-line block ×13, first 2 shown]
	v_add_f64_e32 v[90:91], v[6:7], v[90:91]
	s_mov_b32 s39, 0xbfc7851a
	v_add_f64_e64 v[12:13], v[64:65], -v[12:13]
	v_add_f64_e64 v[16:17], v[52:53], -v[16:17]
	;; [unrolled: 1-line block ×3, first 2 shown]
	v_add_f64_e32 v[44:45], v[30:31], v[50:51]
	v_add_f64_e64 v[20:21], v[32:33], -v[20:21]
	s_mov_b32 s44, 0x7c9e640b
	s_mov_b32 s45, 0xbfeca52d
	v_add_f64_e64 v[28:29], v[48:49], -v[28:29]
	v_add_f64_e32 v[48:49], v[42:43], v[38:39]
	s_mov_b32 s0, 0x370991
	s_mov_b32 s2, 0x75d4884
	s_mov_b32 s12, 0x3259b75e
	s_mov_b32 s14, 0xc61f0d01
	s_mov_b32 s1, 0x3fedd6d0
	s_mov_b32 s3, 0x3fe7a5f6
	s_mov_b32 s13, 0x3fb79ee6
	s_mov_b32 s15, 0xbfd183b1
	s_mov_b32 s16, 0x6ed5f1bb
	s_mov_b32 s18, 0x910ea3b9
	s_mov_b32 s53, 0x3fe0d888
	v_add_f64_e32 v[101:102], v[82:83], v[101:102]
	s_wait_alu 0xfffe
	v_mul_f64_e32 v[32:33], s[26:27], v[4:5]
	v_mul_f64_e32 v[52:53], s[34:35], v[4:5]
	;; [unrolled: 1-line block ×5, first 2 shown]
	s_mov_b32 s49, 0x3feec746
	s_mov_b32 s31, 0x3feca52d
	s_mov_b32 s43, 0x3fd71e95
	s_mov_b32 s52, s28
	s_mov_b32 s48, s20
	s_mov_b32 s30, s44
	s_mov_b32 s42, s26
	s_mov_b32 s17, 0xbfe348c8
	s_mov_b32 s19, 0xbfeb34fa
	s_mov_b32 s22, 0x7faef3
	s_mov_b32 s23, 0xbfef7484
	v_add_f64_e32 v[82:83], v[10:11], v[82:83]
	v_mul_f64_e32 v[105:106], s[36:37], v[8:9]
	v_mul_f64_e32 v[107:108], s[34:35], v[8:9]
	;; [unrolled: 1-line block ×3, first 2 shown]
	s_wait_alu 0xfffe
	v_mul_f64_e32 v[111:112], s[52:53], v[8:9]
	v_mul_f64_e32 v[113:114], s[48:49], v[8:9]
	v_mul_f64_e32 v[115:116], s[30:31], v[8:9]
	s_mov_b32 s6, 0x2b2883cd
	s_mov_b32 s7, 0x3fdc86fa
	v_add_f64_e64 v[36:37], v[36:37], -v[40:41]
	v_add_f64_e32 v[40:41], v[22:23], v[34:35]
	s_mov_b32 s55, 0x3fc7851a
	s_mov_b32 s41, 0x3fe58eea
	;; [unrolled: 1-line block ×4, first 2 shown]
	v_mul_f64_e32 v[117:118], s[44:45], v[12:13]
	v_mul_f64_e32 v[119:120], s[24:25], v[12:13]
	s_wait_alu 0xfffe
	v_mul_f64_e32 v[121:122], s[54:55], v[12:13]
	v_mul_f64_e32 v[123:124], s[48:49], v[12:13]
	;; [unrolled: 1-line block ×4, first 2 shown]
	v_add_f64_e32 v[101:102], v[66:67], v[101:102]
	v_fma_f64 v[149:150], v[90:91], s[0:1], -v[32:33]
	v_fma_f64 v[153:154], v[90:91], s[12:13], -v[52:53]
	v_fma_f64 v[52:53], v[90:91], s[12:13], v[52:53]
	v_fma_f64 v[155:156], v[90:91], s[14:15], -v[64:65]
	v_fma_f64 v[157:158], v[90:91], s[16:17], -v[88:89]
	v_fma_f64 v[88:89], v[90:91], s[16:17], v[88:89]
	v_fma_f64 v[161:162], v[90:91], s[22:23], -v[103:104]
	v_fma_f64 v[103:104], v[90:91], s[22:23], v[103:104]
	v_fma_f64 v[64:65], v[90:91], s[14:15], v[64:65]
	;; [unrolled: 1-line block ×3, first 2 shown]
	v_add_f64_e32 v[66:67], v[14:15], v[66:67]
	v_mul_f64_e32 v[129:130], s[34:35], v[12:13]
	v_mul_f64_e32 v[12:13], s[28:29], v[12:13]
	s_mov_b32 s51, 0x3fe9895b
	s_mov_b32 s50, s24
	v_mul_f64_e32 v[131:132], s[34:35], v[16:17]
	v_mul_f64_e32 v[133:134], s[38:39], v[16:17]
	v_fma_f64 v[171:172], v[82:83], s[2:3], -v[105:106]
	v_fma_f64 v[105:106], v[82:83], s[2:3], v[105:106]
	v_fma_f64 v[173:174], v[82:83], s[12:13], -v[107:108]
	v_fma_f64 v[107:108], v[82:83], s[12:13], v[107:108]
	;; [unrolled: 2-line block ×6, first 2 shown]
	v_mul_f64_e32 v[135:136], s[48:49], v[16:17]
	v_mul_f64_e32 v[137:138], s[42:43], v[16:17]
	;; [unrolled: 1-line block ×4, first 2 shown]
	s_wait_alu 0xfffe
	v_mul_f64_e32 v[143:144], s[50:51], v[16:17]
	v_mul_f64_e32 v[16:17], s[40:41], v[16:17]
	s_mov_b32 s47, 0x3fefdd0d
	s_mov_b32 s46, s34
	v_add_f64_e32 v[101:102], v[54:55], v[101:102]
	v_add_f64_e32 v[54:55], v[18:19], v[54:55]
	v_mul_f64_e32 v[145:146], s[20:21], v[24:25]
	v_add_f64_e32 v[52:53], v[2:3], v[52:53]
	v_mul_f64_e32 v[147:148], s[52:53], v[24:25]
	v_mul_f64_e32 v[165:166], s[38:39], v[24:25]
	v_add_f64_e32 v[88:89], v[2:3], v[88:89]
	s_wait_alu 0xfffe
	v_mul_f64_e32 v[167:168], s[46:47], v[24:25]
	v_add_f64_e32 v[103:104], v[2:3], v[103:104]
	v_add_f64_e32 v[64:65], v[2:3], v[64:65]
	v_mul_f64_e32 v[169:170], s[26:27], v[24:25]
	v_fma_f64 v[189:190], v[66:67], s[6:7], -v[117:118]
	v_fma_f64 v[117:118], v[66:67], s[6:7], v[117:118]
	v_fma_f64 v[191:192], v[66:67], s[16:17], -v[119:120]
	v_fma_f64 v[119:120], v[66:67], s[16:17], v[119:120]
	;; [unrolled: 2-line block ×8, first 2 shown]
	v_mul_f64_e32 v[187:188], s[28:29], v[28:29]
	v_add_f64_e32 v[101:102], v[46:47], v[101:102]
	v_add_f64_e32 v[46:47], v[26:27], v[46:47]
	;; [unrolled: 1-line block ×4, first 2 shown]
	v_mul_f64_e32 v[111:112], s[28:29], v[36:37]
	v_add_f64_e32 v[80:81], v[50:51], v[101:102]
	v_mul_f64_e32 v[50:51], s[36:37], v[4:5]
	v_mul_f64_e32 v[101:102], s[28:29], v[4:5]
	;; [unrolled: 1-line block ×3, first 2 shown]
	v_add_f64_e32 v[88:89], v[127:128], v[88:89]
	v_fma_f64 v[127:128], v[46:47], s[14:15], v[145:146]
	v_add_f64_e32 v[64:65], v[125:126], v[64:65]
	v_fma_f64 v[125:126], v[46:47], s[14:15], -v[145:146]
	v_fma_f64 v[145:146], v[46:47], s[18:19], v[147:148]
	v_add_f64_e32 v[38:39], v[38:39], v[80:81]
	v_mul_f64_e32 v[80:81], s[38:39], v[8:9]
	v_mul_f64_e32 v[8:9], s[42:43], v[8:9]
	v_fma_f64 v[151:152], v[90:91], s[2:3], -v[50:51]
	v_fma_f64 v[50:51], v[90:91], s[2:3], v[50:51]
	v_fma_f64 v[159:160], v[90:91], s[18:19], -v[101:102]
	v_fma_f64 v[101:102], v[90:91], s[18:19], v[101:102]
	v_fma_f64 v[163:164], v[90:91], s[6:7], v[4:5]
	v_fma_f64 v[4:5], v[90:91], s[6:7], -v[4:5]
	v_mul_f64_e32 v[90:91], s[44:45], v[24:25]
	v_add_f64_e32 v[34:35], v[34:35], v[38:39]
	v_fma_f64 v[177:178], v[82:83], s[22:23], -v[80:81]
	v_fma_f64 v[80:81], v[82:83], s[22:23], v[80:81]
	v_fma_f64 v[185:186], v[82:83], s[0:1], -v[8:9]
	v_fma_f64 v[8:9], v[82:83], s[0:1], v[8:9]
	v_add_f64_e32 v[82:83], v[2:3], v[149:150]
	v_add_f64_e32 v[149:150], v[2:3], v[151:152]
	;; [unrolled: 1-line block ×12, first 2 shown]
	v_mul_f64_e32 v[38:39], s[40:41], v[24:25]
	v_mul_f64_e32 v[24:25], s[24:25], v[24:25]
	;; [unrolled: 1-line block ×4, first 2 shown]
	v_add_f64_e32 v[22:23], v[22:23], v[34:35]
	v_mul_f64_e32 v[34:35], s[48:49], v[28:29]
	v_add_f64_e32 v[52:53], v[80:81], v[52:53]
	v_add_f64_e32 v[8:9], v[8:9], v[103:104]
	;; [unrolled: 1-line block ×14, first 2 shown]
	v_fma_f64 v[115:116], v[54:55], s[12:13], -v[131:132]
	v_fma_f64 v[131:132], v[54:55], s[12:13], v[131:132]
	v_fma_f64 v[153:154], v[54:55], s[22:23], -v[133:134]
	v_fma_f64 v[133:134], v[54:55], s[22:23], v[133:134]
	;; [unrolled: 2-line block ×8, first 2 shown]
	v_mul_f64_e32 v[105:106], s[36:37], v[28:29]
	v_mul_f64_e32 v[109:110], s[38:39], v[28:29]
	v_fma_f64 v[175:176], v[46:47], s[12:13], -v[167:168]
	v_fma_f64 v[167:168], v[46:47], s[12:13], v[167:168]
	v_fma_f64 v[177:178], v[46:47], s[0:1], -v[169:170]
	v_add_f64_e32 v[22:23], v[42:43], v[22:23]
	v_mul_f64_e32 v[42:43], s[46:47], v[28:29]
	v_add_f64_e32 v[52:53], v[123:124], v[52:53]
	v_mul_f64_e32 v[28:29], s[30:31], v[28:29]
	v_add_f64_e32 v[8:9], v[12:13], v[8:9]
	v_add_f64_e32 v[54:55], v[189:190], v[66:67]
	;; [unrolled: 1-line block ×13, first 2 shown]
	v_fma_f64 v[129:130], v[46:47], s[18:19], -v[147:148]
	v_fma_f64 v[147:148], v[46:47], s[2:3], -v[38:39]
	v_fma_f64 v[38:39], v[46:47], s[2:3], v[38:39]
	v_fma_f64 v[149:150], v[46:47], s[6:7], -v[90:91]
	v_fma_f64 v[90:91], v[46:47], s[6:7], v[90:91]
	v_fma_f64 v[151:152], v[46:47], s[22:23], -v[165:166]
	v_fma_f64 v[165:166], v[46:47], s[22:23], v[165:166]
	v_fma_f64 v[169:170], v[46:47], s[0:1], v[169:170]
	v_fma_f64 v[179:180], v[46:47], s[16:17], -v[24:25]
	v_fma_f64 v[24:25], v[46:47], s[16:17], v[24:25]
	v_mul_f64_e32 v[103:104], s[34:35], v[36:37]
	v_add_f64_e32 v[88:89], v[141:142], v[88:89]
	v_mul_f64_e32 v[117:118], s[50:51], v[36:37]
	v_mul_f64_e32 v[121:122], s[26:27], v[36:37]
	;; [unrolled: 1-line block ×3, first 2 shown]
	v_fma_f64 v[141:142], v[44:45], s[18:19], v[187:188]
	v_add_f64_e32 v[22:23], v[30:31], v[22:23]
	v_mul_f64_e32 v[30:31], s[30:31], v[36:37]
	v_add_f64_e32 v[52:53], v[137:138], v[52:53]
	v_fma_f64 v[137:138], v[44:45], s[0:1], v[163:164]
	v_add_f64_e32 v[8:9], v[16:17], v[8:9]
	v_add_f64_e32 v[46:47], v[115:116], v[54:55]
	;; [unrolled: 1-line block ×14, first 2 shown]
	v_fma_f64 v[131:132], v[44:45], s[16:17], -v[32:33]
	v_fma_f64 v[32:33], v[44:45], s[16:17], v[32:33]
	v_fma_f64 v[133:134], v[44:45], s[14:15], -v[34:35]
	v_fma_f64 v[34:35], v[44:45], s[14:15], v[34:35]
	v_fma_f64 v[135:136], v[44:45], s[0:1], -v[163:164]
	v_fma_f64 v[139:140], v[44:45], s[18:19], -v[187:188]
	;; [unrolled: 1-line block ×3, first 2 shown]
	v_fma_f64 v[42:43], v[44:45], s[12:13], v[42:43]
	v_fma_f64 v[153:154], v[44:45], s[2:3], -v[105:106]
	v_fma_f64 v[105:106], v[44:45], s[2:3], v[105:106]
	v_fma_f64 v[155:156], v[44:45], s[22:23], -v[109:110]
	;; [unrolled: 2-line block ×3, first 2 shown]
	v_fma_f64 v[28:29], v[44:45], s[6:7], v[28:29]
	v_mul_f64_e32 v[101:102], s[38:39], v[20:21]
	v_mul_f64_e32 v[115:116], s[42:43], v[20:21]
	;; [unrolled: 1-line block ×3, first 2 shown]
	v_add_f64_e32 v[22:23], v[26:27], v[22:23]
	v_mul_f64_e32 v[26:27], s[40:41], v[36:37]
	v_mul_f64_e32 v[36:37], s[20:21], v[36:37]
	v_add_f64_e32 v[52:53], v[90:91], v[52:53]
	v_add_f64_e32 v[8:9], v[24:25], v[8:9]
	v_add_f64_e32 v[44:45], v[125:126], v[46:47]
	v_add_f64_e32 v[46:47], v[129:130], v[54:55]
	v_add_f64_e32 v[50:51], v[145:146], v[50:51]
	v_add_f64_e32 v[54:55], v[149:150], v[66:67]
	v_add_f64_e32 v[66:67], v[151:152], v[80:81]
	v_add_f64_e32 v[80:81], v[175:176], v[82:83]
	v_add_f64_e32 v[82:83], v[167:168], v[88:89]
	v_add_f64_e32 v[88:89], v[177:178], v[107:108]
	v_add_f64_e32 v[90:91], v[179:180], v[113:114]
	v_add_f64_e32 v[12:13], v[169:170], v[12:13]
	v_add_f64_e32 v[16:17], v[165:166], v[16:17]
	v_add_f64_e32 v[24:25], v[38:39], v[64:65]
	v_add_f64_e32 v[3:4], v[147:148], v[3:4]
	v_add_f64_e32 v[1:2], v[127:128], v[1:2]
	v_mul_f64_e32 v[38:39], s[24:25], v[20:21]
	v_mul_f64_e32 v[64:65], s[30:31], v[20:21]
	;; [unrolled: 1-line block ×3, first 2 shown]
	v_fma_f64 v[113:114], v[48:49], s[18:19], -v[111:112]
	v_fma_f64 v[111:112], v[48:49], s[18:19], v[111:112]
	v_fma_f64 v[125:126], v[48:49], s[6:7], -v[30:31]
	v_fma_f64 v[30:31], v[48:49], s[6:7], v[30:31]
	;; [unrolled: 2-line block ×6, first 2 shown]
	v_add_f64_e32 v[18:19], v[18:19], v[22:23]
	v_mul_f64_e32 v[22:23], s[40:41], v[20:21]
	v_mul_f64_e32 v[20:21], s[46:47], v[20:21]
	v_fma_f64 v[149:150], v[48:49], s[2:3], -v[26:27]
	v_fma_f64 v[26:27], v[48:49], s[2:3], v[26:27]
	v_fma_f64 v[151:152], v[48:49], s[14:15], -v[36:37]
	v_fma_f64 v[36:37], v[48:49], s[14:15], v[36:37]
	v_add_f64_e32 v[44:45], v[131:132], v[44:45]
	v_add_f64_e32 v[46:47], v[133:134], v[46:47]
	;; [unrolled: 1-line block ×16, first 2 shown]
	v_fma_f64 v[28:29], v[40:41], s[22:23], v[101:102]
	v_fma_f64 v[32:33], v[40:41], s[0:1], -v[115:116]
	v_fma_f64 v[42:43], v[40:41], s[0:1], v[115:116]
	v_fma_f64 v[88:89], v[40:41], s[18:19], -v[119:120]
	;; [unrolled: 2-line block ×5, first 2 shown]
	v_fma_f64 v[107:108], v[40:41], s[14:15], v[107:108]
	v_add_f64_e32 v[14:15], v[14:15], v[18:19]
	v_fma_f64 v[18:19], v[40:41], s[22:23], -v[101:102]
	v_fma_f64 v[101:102], v[40:41], s[2:3], -v[22:23]
	v_fma_f64 v[22:23], v[40:41], s[2:3], v[22:23]
	v_fma_f64 v[119:120], v[40:41], s[12:13], -v[20:21]
	v_fma_f64 v[20:21], v[40:41], s[12:13], v[20:21]
	v_add_f64_e32 v[40:41], v[113:114], v[44:45]
	v_add_f64_e32 v[44:45], v[125:126], v[46:47]
	;; [unrolled: 1-line block ×34, first 2 shown]
	v_lshlrev_b32_e32 v7, 7, v97
	s_delay_alu instid0(VALU_DEP_1)
	v_add3_u32 v0, v0, v7, v98
	ds_store_2addr_b64 v0, v[30:31], v[32:33] offset0:4 offset1:5
	ds_store_2addr_b64 v0, v[34:35], v[40:41] offset0:6 offset1:7
	;; [unrolled: 1-line block ×6, first 2 shown]
	ds_store_2addr_b64 v0, v[5:6], v[14:15] offset1:1
	ds_store_2addr_b64 v0, v[18:19], v[3:4] offset0:2 offset1:3
	ds_store_b64 v0, v[1:2] offset:128
.LBB0_16:
	s_or_b32 exec_lo, exec_lo, s33
	global_wb scope:SCOPE_SE
	s_wait_dscnt 0x0
	s_barrier_signal -1
	s_barrier_wait -1
	global_inv scope:SCOPE_SE
	s_and_saveexec_b32 s0, vcc_lo
	s_cbranch_execz .LBB0_18
; %bb.17:
	v_mul_u32_u24_e32 v0, 12, v97
	s_mov_b32 s14, 0x42a4c3d2
	s_mov_b32 s0, 0xe00740e9
	s_mov_b32 s15, 0x3fea55e2
	s_mov_b32 s1, 0x3fec55a7
	v_lshlrev_b32_e32 v30, 4, v0
	s_mov_b32 s21, 0xbfea55e2
	s_wait_alu 0xfffe
	s_mov_b32 s20, s14
	s_mov_b32 s2, 0x1ea71119
	;; [unrolled: 1-line block ×3, first 2 shown]
	s_clause 0x1
	global_load_b128 v[0:3], v30, s[4:5] offset:48
	global_load_b128 v[10:13], v30, s[4:5] offset:32
	ds_load_2addr_b64 v[6:9], v100 offset0:51 offset1:68
	s_mov_b32 s16, 0x66966769
	s_mov_b32 s17, 0x3fefc445
	;; [unrolled: 1-line block ×3, first 2 shown]
	s_wait_alu 0xfffe
	s_mov_b32 s26, s16
	s_mov_b32 s18, 0x2ef20147
	;; [unrolled: 1-line block ×12, first 2 shown]
	s_wait_alu 0xfffe
	s_mov_b32 s28, s22
	s_mov_b32 s31, 0x3fedeba7
	;; [unrolled: 1-line block ×3, first 2 shown]
	s_wait_loadcnt 0x1
	v_mul_f64_e32 v[4:5], v[86:87], v[0:1]
	s_wait_loadcnt 0x0
	v_mul_f64_e32 v[14:15], v[84:85], v[12:13]
	s_wait_dscnt 0x0
	s_delay_alu instid0(VALU_DEP_2) | instskip(SKIP_1) | instid1(VALU_DEP_1)
	v_fma_f64 v[4:5], v[8:9], v[2:3], v[4:5]
	v_mul_f64_e32 v[2:3], v[86:87], v[2:3]
	v_fma_f64 v[8:9], v[8:9], v[0:1], -v[2:3]
	v_mul_f64_e32 v[0:1], v[84:85], v[10:11]
	v_fma_f64 v[10:11], v[6:7], v[10:11], -v[14:15]
	s_delay_alu instid0(VALU_DEP_2)
	v_fma_f64 v[2:3], v[6:7], v[12:13], v[0:1]
	s_clause 0x1
	global_load_b128 v[12:15], v30, s[4:5] offset:128
	global_load_b128 v[16:19], v30, s[4:5] offset:144
	ds_load_2addr_b64 v[20:23], v100 offset0:153 offset1:170
	s_wait_loadcnt 0x1
	v_mul_f64_e32 v[0:1], v[76:77], v[12:13]
	s_wait_dscnt 0x0
	s_delay_alu instid0(VALU_DEP_1) | instskip(SKIP_1) | instid1(VALU_DEP_1)
	v_fma_f64 v[6:7], v[20:21], v[14:15], v[0:1]
	v_mul_f64_e32 v[0:1], v[76:77], v[14:15]
	v_fma_f64 v[14:15], v[20:21], v[12:13], -v[0:1]
	s_wait_loadcnt 0x0
	v_mul_f64_e32 v[0:1], v[78:79], v[16:17]
	v_mul_f64_e32 v[20:21], v[78:79], v[18:19]
	s_delay_alu instid0(VALU_DEP_2) | instskip(NEXT) | instid1(VALU_DEP_2)
	v_fma_f64 v[12:13], v[22:23], v[18:19], v[0:1]
	v_fma_f64 v[16:17], v[22:23], v[16:17], -v[20:21]
	s_clause 0x1
	global_load_b128 v[22:25], v30, s[4:5] offset:64
	global_load_b128 v[26:29], v30, s[4:5] offset:80
	ds_load_2addr_b64 v[31:34], v100 offset0:85 offset1:102
	s_wait_loadcnt 0x1
	v_mul_f64_e32 v[0:1], v[72:73], v[22:23]
	s_wait_dscnt 0x0
	s_delay_alu instid0(VALU_DEP_1) | instskip(SKIP_1) | instid1(VALU_DEP_1)
	v_fma_f64 v[20:21], v[31:32], v[24:25], v[0:1]
	v_mul_f64_e32 v[0:1], v[72:73], v[24:25]
	v_fma_f64 v[24:25], v[31:32], v[22:23], -v[0:1]
	s_wait_loadcnt 0x0
	v_mul_f64_e32 v[0:1], v[74:75], v[26:27]
	v_mul_f64_e32 v[22:23], v[74:75], v[28:29]
	s_delay_alu instid0(VALU_DEP_2) | instskip(NEXT) | instid1(VALU_DEP_2)
	v_fma_f64 v[18:19], v[33:34], v[28:29], v[0:1]
	v_fma_f64 v[22:23], v[33:34], v[26:27], -v[22:23]
	s_clause 0x1
	global_load_b128 v[26:29], v30, s[4:5] offset:112
	global_load_b128 v[31:34], v30, s[4:5] offset:96
	ds_load_2addr_b64 v[35:38], v100 offset0:119 offset1:136
	s_wait_loadcnt 0x1
	v_mul_f64_e32 v[0:1], v[70:71], v[26:27]
	s_wait_dscnt 0x0
	s_delay_alu instid0(VALU_DEP_1) | instskip(SKIP_3) | instid1(VALU_DEP_2)
	v_fma_f64 v[43:44], v[37:38], v[28:29], v[0:1]
	v_mul_f64_e32 v[0:1], v[70:71], v[28:29]
	s_wait_loadcnt 0x0
	v_mul_f64_e32 v[28:29], v[68:69], v[33:34]
	v_fma_f64 v[45:46], v[37:38], v[26:27], -v[0:1]
	v_mul_f64_e32 v[0:1], v[68:69], v[31:32]
	s_delay_alu instid0(VALU_DEP_3) | instskip(NEXT) | instid1(VALU_DEP_2)
	v_fma_f64 v[28:29], v[35:36], v[31:32], -v[28:29]
	v_fma_f64 v[26:27], v[35:36], v[33:34], v[0:1]
	s_clause 0x1
	global_load_b128 v[31:34], v30, s[4:5] offset:16
	global_load_b128 v[35:38], v30, s[4:5]
	ds_load_2addr_b64 v[39:42], v100 offset0:17 offset1:34
	s_wait_loadcnt 0x1
	v_mul_f64_e32 v[0:1], v[62:63], v[31:32]
	s_wait_dscnt 0x0
	s_delay_alu instid0(VALU_DEP_1) | instskip(SKIP_1) | instid1(VALU_DEP_1)
	v_fma_f64 v[47:48], v[41:42], v[33:34], v[0:1]
	v_mul_f64_e32 v[0:1], v[62:63], v[33:34]
	v_fma_f64 v[49:50], v[41:42], v[31:32], -v[0:1]
	s_wait_loadcnt 0x0
	v_mul_f64_e32 v[0:1], v[60:61], v[37:38]
	v_mul_f64_e32 v[31:32], v[60:61], v[35:36]
	s_delay_alu instid0(VALU_DEP_2) | instskip(NEXT) | instid1(VALU_DEP_2)
	v_fma_f64 v[51:52], v[39:40], v[35:36], -v[0:1]
	v_fma_f64 v[53:54], v[39:40], v[37:38], v[31:32]
	s_clause 0x1
	global_load_b128 v[31:34], v30, s[4:5] offset:160
	global_load_b128 v[35:38], v30, s[4:5] offset:176
	ds_load_2addr_b64 v[39:42], v100 offset0:187 offset1:204
	s_mov_b32 s5, 0x3fddbe06
	s_mov_b32 s4, 0x4267c47c
	s_wait_loadcnt 0x1
	v_mul_f64_e32 v[0:1], v[56:57], v[31:32]
	s_wait_dscnt 0x0
	s_delay_alu instid0(VALU_DEP_1) | instskip(SKIP_2) | instid1(VALU_DEP_2)
	v_fma_f64 v[60:61], v[39:40], v[33:34], v[0:1]
	v_mul_f64_e32 v[0:1], v[56:57], v[33:34]
	v_mad_co_u64_u32 v[55:56], null, s8, v96, 0
	v_fma_f64 v[39:40], v[39:40], v[31:32], -v[0:1]
	s_wait_loadcnt 0x0
	v_mul_f64_e32 v[0:1], v[58:59], v[35:36]
	v_mul_f64_e32 v[30:31], v[58:59], v[37:38]
	v_add_f64_e32 v[32:33], v[94:95], v[53:54]
	v_add_f64_e32 v[57:58], v[4:5], v[6:7]
	s_delay_alu instid0(VALU_DEP_4)
	v_fma_f64 v[37:38], v[41:42], v[37:38], v[0:1]
	ds_load_b64 v[0:1], v99
	v_fma_f64 v[41:42], v[41:42], v[35:36], -v[30:31]
	v_add_f64_e32 v[32:33], v[47:48], v[32:33]
	s_wait_dscnt 0x0
	v_add_f64_e32 v[30:31], v[0:1], v[51:52]
	s_delay_alu instid0(VALU_DEP_2) | instskip(NEXT) | instid1(VALU_DEP_2)
	v_add_f64_e32 v[32:33], v[2:3], v[32:33]
	v_add_f64_e32 v[30:31], v[49:50], v[30:31]
	s_delay_alu instid0(VALU_DEP_2) | instskip(NEXT) | instid1(VALU_DEP_2)
	v_add_f64_e32 v[32:33], v[4:5], v[32:33]
	;; [unrolled: 3-line block ×10, first 2 shown]
	v_add_f64_e32 v[30:31], v[39:40], v[30:31]
	s_delay_alu instid0(VALU_DEP_1) | instskip(SKIP_1) | instid1(VALU_DEP_1)
	v_add_f64_e32 v[34:35], v[41:42], v[30:31]
	v_mov_b32_e32 v30, v56
	v_mad_co_u64_u32 v[30:31], null, s9, v96, v[30:31]
	s_delay_alu instid0(VALU_DEP_1) | instskip(SKIP_2) | instid1(VALU_DEP_3)
	v_mov_b32_e32 v56, v30
	v_lshlrev_b64_e32 v[30:31], 4, v[92:93]
	v_add_nc_u32_e32 v93, 17, v96
	v_lshlrev_b64_e32 v[55:56], 4, v[55:56]
	s_delay_alu instid0(VALU_DEP_3) | instskip(SKIP_1) | instid1(VALU_DEP_4)
	v_add_co_u32 v30, vcc_lo, s10, v30
	s_wait_alu 0xfffd
	v_add_co_ci_u32_e32 v31, vcc_lo, s11, v31, vcc_lo
	s_mov_b32 s10, 0x93053d00
	s_delay_alu instid0(VALU_DEP_2) | instskip(SKIP_1) | instid1(VALU_DEP_2)
	v_add_co_u32 v55, vcc_lo, v30, v55
	s_wait_alu 0xfffd
	v_add_co_ci_u32_e32 v56, vcc_lo, v31, v56, vcc_lo
	s_mov_b32 s11, 0xbfef11f4
	global_store_b128 v[55:56], v[32:35], off
	v_add_f64_e64 v[32:33], v[24:25], -v[45:46]
	v_add_f64_e32 v[24:25], v[24:25], v[45:46]
	v_add_f64_e64 v[34:35], v[20:21], -v[43:44]
	v_add_f64_e32 v[20:21], v[20:21], v[43:44]
	v_add_f64_e32 v[43:44], v[8:9], v[14:15]
	v_add_f64_e64 v[8:9], v[8:9], -v[14:15]
	v_add_f64_e32 v[45:46], v[10:11], v[16:17]
	v_add_f64_e64 v[10:11], v[10:11], -v[16:17]
	v_add_f64_e32 v[55:56], v[49:50], v[39:40]
	v_add_f64_e64 v[14:15], v[49:50], -v[39:40]
	v_add_f64_e32 v[39:40], v[51:52], v[41:42]
	v_add_f64_e64 v[16:17], v[51:52], -v[41:42]
	v_add_f64_e64 v[41:42], v[53:54], -v[37:38]
	v_add_f64_e32 v[36:37], v[53:54], v[37:38]
	v_add_f64_e64 v[49:50], v[47:48], -v[60:61]
	v_add_f64_e64 v[51:52], v[22:23], -v[28:29]
	v_add_f64_e32 v[22:23], v[22:23], v[28:29]
	v_add_f64_e64 v[28:29], v[18:19], -v[26:27]
	v_add_f64_e32 v[18:19], v[18:19], v[26:27]
	;; [unrolled: 2-line block ×4, first 2 shown]
	v_mul_f64_e32 v[61:62], s[4:5], v[32:33]
	v_mul_f64_e32 v[59:60], s[4:5], v[34:35]
	;; [unrolled: 1-line block ×17, first 2 shown]
	s_mov_b32 s5, 0xbfddbe06
	v_mul_f64_e32 v[131:132], s[24:25], v[14:15]
	s_wait_alu 0xfffe
	v_mul_f64_e32 v[77:78], s[4:5], v[41:42]
	v_mul_f64_e32 v[81:82], s[4:5], v[16:17]
	s_mov_b32 s4, 0xebaa3ed8
	s_mov_b32 s5, 0x3fbedb7d
	v_mul_f64_e32 v[143:144], s[22:23], v[28:29]
	v_mul_f64_e32 v[145:146], s[22:23], v[51:52]
	;; [unrolled: 1-line block ×11, first 2 shown]
	v_fma_f64 v[85:86], v[47:48], s[2:3], v[83:84]
	v_fma_f64 v[113:114], v[47:48], s[12:13], v[111:112]
	v_fma_f64 v[4:5], v[55:56], s[2:3], -v[79:80]
	v_fma_f64 v[133:134], v[47:48], s[10:11], v[131:132]
	v_fma_f64 v[2:3], v[39:40], s[0:1], -v[77:78]
	v_fma_f64 v[153:154], v[47:48], s[6:7], v[151:152]
	s_wait_alu 0xfffe
	v_fma_f64 v[169:170], v[47:48], s[4:5], v[14:15]
	v_fma_f64 v[14:15], v[47:48], s[4:5], -v[14:15]
	s_delay_alu instid0(VALU_DEP_4) | instskip(NEXT) | instid1(VALU_DEP_1)
	v_add_f64_e32 v[2:3], v[0:1], v[2:3]
	v_add_f64_e32 v[2:3], v[4:5], v[2:3]
	v_fma_f64 v[4:5], v[36:37], s[0:1], v[81:82]
	s_delay_alu instid0(VALU_DEP_1) | instskip(NEXT) | instid1(VALU_DEP_1)
	v_add_f64_e32 v[4:5], v[94:95], v[4:5]
	v_add_f64_e32 v[4:5], v[85:86], v[4:5]
	v_mul_f64_e32 v[85:86], s[26:27], v[26:27]
	s_delay_alu instid0(VALU_DEP_1) | instskip(NEXT) | instid1(VALU_DEP_1)
	v_fma_f64 v[87:88], v[45:46], s[4:5], -v[85:86]
	v_add_f64_e32 v[2:3], v[87:88], v[2:3]
	v_mul_f64_e32 v[87:88], s[26:27], v[10:11]
	s_delay_alu instid0(VALU_DEP_1) | instskip(NEXT) | instid1(VALU_DEP_1)
	v_fma_f64 v[89:90], v[53:54], s[4:5], v[87:88]
	v_add_f64_e32 v[4:5], v[89:90], v[4:5]
	v_mul_f64_e32 v[89:90], s[18:19], v[12:13]
	s_delay_alu instid0(VALU_DEP_1) | instskip(NEXT) | instid1(VALU_DEP_1)
	v_fma_f64 v[91:92], v[43:44], s[12:13], -v[89:90]
	v_add_f64_e32 v[2:3], v[91:92], v[2:3]
	v_mul_f64_e32 v[91:92], s[18:19], v[8:9]
	s_delay_alu instid0(VALU_DEP_1) | instskip(NEXT) | instid1(VALU_DEP_1)
	v_fma_f64 v[97:98], v[57:58], s[12:13], v[91:92]
	;; [unrolled: 8-line block ×3, first 2 shown]
	v_add_f64_e32 v[101:102], v[101:102], v[4:5]
	v_fma_f64 v[4:5], v[22:23], s[10:11], -v[103:104]
	s_delay_alu instid0(VALU_DEP_1) | instskip(SKIP_1) | instid1(VALU_DEP_1)
	v_add_f64_e32 v[4:5], v[4:5], v[2:3]
	v_fma_f64 v[2:3], v[18:19], s[10:11], v[105:106]
	v_add_f64_e32 v[2:3], v[2:3], v[101:102]
	v_mad_co_u64_u32 v[101:102], null, s8, v93, 0
	s_delay_alu instid0(VALU_DEP_1) | instskip(NEXT) | instid1(VALU_DEP_1)
	v_mov_b32_e32 v38, v102
	v_mad_co_u64_u32 v[107:108], null, s9, v93, v[38:39]
	s_delay_alu instid0(VALU_DEP_1) | instskip(SKIP_1) | instid1(VALU_DEP_2)
	v_dual_mov_b32 v102, v107 :: v_dual_add_nc_u32 v93, 34, v96
	v_mul_f64_e32 v[107:108], s[18:19], v[49:50]
	v_lshlrev_b64_e32 v[101:102], 4, v[101:102]
	s_delay_alu instid0(VALU_DEP_1) | instskip(SKIP_1) | instid1(VALU_DEP_2)
	v_add_co_u32 v101, vcc_lo, v30, v101
	s_wait_alu 0xfffd
	v_add_co_ci_u32_e32 v102, vcc_lo, v31, v102, vcc_lo
	global_store_b128 v[101:102], v[2:5], off
	v_mul_f64_e32 v[101:102], s[20:21], v[41:42]
	v_fma_f64 v[4:5], v[55:56], s[12:13], -v[107:108]
	s_delay_alu instid0(VALU_DEP_2) | instskip(NEXT) | instid1(VALU_DEP_1)
	v_fma_f64 v[2:3], v[39:40], s[2:3], -v[101:102]
	v_add_f64_e32 v[2:3], v[0:1], v[2:3]
	s_delay_alu instid0(VALU_DEP_1) | instskip(SKIP_1) | instid1(VALU_DEP_1)
	v_add_f64_e32 v[2:3], v[4:5], v[2:3]
	v_fma_f64 v[4:5], v[36:37], s[2:3], v[109:110]
	v_add_f64_e32 v[4:5], v[94:95], v[4:5]
	s_delay_alu instid0(VALU_DEP_1) | instskip(SKIP_1) | instid1(VALU_DEP_1)
	v_add_f64_e32 v[4:5], v[113:114], v[4:5]
	v_mul_f64_e32 v[113:114], s[24:25], v[26:27]
	v_fma_f64 v[115:116], v[45:46], s[10:11], -v[113:114]
	s_delay_alu instid0(VALU_DEP_1) | instskip(SKIP_1) | instid1(VALU_DEP_1)
	v_add_f64_e32 v[2:3], v[115:116], v[2:3]
	v_mul_f64_e32 v[115:116], s[24:25], v[10:11]
	v_fma_f64 v[117:118], v[53:54], s[10:11], v[115:116]
	s_delay_alu instid0(VALU_DEP_1) | instskip(SKIP_1) | instid1(VALU_DEP_1)
	v_add_f64_e32 v[4:5], v[117:118], v[4:5]
	v_mul_f64_e32 v[117:118], s[28:29], v[12:13]
	v_fma_f64 v[119:120], v[43:44], s[6:7], -v[117:118]
	s_delay_alu instid0(VALU_DEP_1) | instskip(SKIP_1) | instid1(VALU_DEP_1)
	v_add_f64_e32 v[2:3], v[119:120], v[2:3]
	v_mul_f64_e32 v[119:120], s[28:29], v[8:9]
	v_fma_f64 v[121:122], v[57:58], s[6:7], v[119:120]
	s_delay_alu instid0(VALU_DEP_1) | instskip(SKIP_1) | instid1(VALU_DEP_1)
	v_add_f64_e32 v[4:5], v[121:122], v[4:5]
	v_mul_f64_e32 v[121:122], s[16:17], v[34:35]
	v_fma_f64 v[123:124], v[24:25], s[4:5], -v[121:122]
	s_delay_alu instid0(VALU_DEP_1) | instskip(SKIP_1) | instid1(VALU_DEP_1)
	v_add_f64_e32 v[2:3], v[123:124], v[2:3]
	v_mul_f64_e32 v[123:124], s[16:17], v[32:33]
	v_fma_f64 v[125:126], v[20:21], s[4:5], v[123:124]
	s_delay_alu instid0(VALU_DEP_1) | instskip(SKIP_1) | instid1(VALU_DEP_1)
	v_add_f64_e32 v[125:126], v[125:126], v[4:5]
	v_fma_f64 v[4:5], v[22:23], s[0:1], -v[73:74]
	v_add_f64_e32 v[4:5], v[4:5], v[2:3]
	v_fma_f64 v[2:3], v[18:19], s[0:1], v[75:76]
	s_delay_alu instid0(VALU_DEP_1) | instskip(SKIP_1) | instid1(VALU_DEP_1)
	v_add_f64_e32 v[2:3], v[2:3], v[125:126]
	v_mad_co_u64_u32 v[125:126], null, s8, v93, 0
	v_mov_b32_e32 v38, v126
	s_delay_alu instid0(VALU_DEP_1) | instskip(SKIP_2) | instid1(VALU_DEP_3)
	v_mad_co_u64_u32 v[126:127], null, s9, v93, v[38:39]
	v_mul_f64_e32 v[127:128], s[24:25], v[49:50]
	v_add_nc_u32_e32 v93, 51, v96
	v_lshlrev_b64_e32 v[125:126], 4, v[125:126]
	s_delay_alu instid0(VALU_DEP_1) | instskip(SKIP_1) | instid1(VALU_DEP_2)
	v_add_co_u32 v125, vcc_lo, v30, v125
	s_wait_alu 0xfffd
	v_add_co_ci_u32_e32 v126, vcc_lo, v31, v126, vcc_lo
	global_store_b128 v[125:126], v[2:5], off
	v_mul_f64_e32 v[125:126], s[26:27], v[41:42]
	v_fma_f64 v[4:5], v[55:56], s[10:11], -v[127:128]
	s_delay_alu instid0(VALU_DEP_2) | instskip(NEXT) | instid1(VALU_DEP_1)
	v_fma_f64 v[2:3], v[39:40], s[4:5], -v[125:126]
	v_add_f64_e32 v[2:3], v[0:1], v[2:3]
	s_delay_alu instid0(VALU_DEP_1) | instskip(SKIP_1) | instid1(VALU_DEP_1)
	v_add_f64_e32 v[2:3], v[4:5], v[2:3]
	v_fma_f64 v[4:5], v[36:37], s[4:5], v[129:130]
	v_add_f64_e32 v[4:5], v[94:95], v[4:5]
	s_delay_alu instid0(VALU_DEP_1) | instskip(SKIP_1) | instid1(VALU_DEP_1)
	v_add_f64_e32 v[4:5], v[133:134], v[4:5]
	v_mul_f64_e32 v[133:134], s[30:31], v[26:27]
	v_fma_f64 v[135:136], v[45:46], s[12:13], -v[133:134]
	s_delay_alu instid0(VALU_DEP_1) | instskip(SKIP_1) | instid1(VALU_DEP_1)
	v_add_f64_e32 v[2:3], v[135:136], v[2:3]
	v_mul_f64_e32 v[135:136], s[30:31], v[10:11]
	v_fma_f64 v[137:138], v[53:54], s[12:13], v[135:136]
	s_delay_alu instid0(VALU_DEP_1) | instskip(SKIP_1) | instid1(VALU_DEP_1)
	v_add_f64_e32 v[4:5], v[137:138], v[4:5]
	v_fma_f64 v[137:138], v[43:44], s[0:1], -v[65:66]
	v_add_f64_e32 v[2:3], v[137:138], v[2:3]
	v_fma_f64 v[137:138], v[57:58], s[0:1], v[71:72]
	s_delay_alu instid0(VALU_DEP_1) | instskip(SKIP_1) | instid1(VALU_DEP_1)
	v_add_f64_e32 v[4:5], v[137:138], v[4:5]
	v_mul_f64_e32 v[137:138], s[20:21], v[34:35]
	v_fma_f64 v[139:140], v[24:25], s[2:3], -v[137:138]
	s_delay_alu instid0(VALU_DEP_1) | instskip(SKIP_1) | instid1(VALU_DEP_1)
	v_add_f64_e32 v[2:3], v[139:140], v[2:3]
	v_mul_f64_e32 v[139:140], s[20:21], v[32:33]
	v_fma_f64 v[141:142], v[20:21], s[2:3], v[139:140]
	s_delay_alu instid0(VALU_DEP_1) | instskip(SKIP_1) | instid1(VALU_DEP_1)
	v_add_f64_e32 v[141:142], v[141:142], v[4:5]
	v_fma_f64 v[4:5], v[22:23], s[6:7], -v[143:144]
	v_add_f64_e32 v[4:5], v[4:5], v[2:3]
	v_fma_f64 v[2:3], v[18:19], s[6:7], v[145:146]
	s_delay_alu instid0(VALU_DEP_1) | instskip(SKIP_1) | instid1(VALU_DEP_1)
	v_add_f64_e32 v[2:3], v[2:3], v[141:142]
	v_mad_co_u64_u32 v[141:142], null, s8, v93, 0
	v_mov_b32_e32 v38, v142
	s_delay_alu instid0(VALU_DEP_1) | instskip(NEXT) | instid1(VALU_DEP_1)
	v_mad_co_u64_u32 v[147:148], null, s9, v93, v[38:39]
	v_dual_mov_b32 v142, v147 :: v_dual_add_nc_u32 v93, 0x44, v96
	v_mul_f64_e32 v[147:148], s[28:29], v[49:50]
	v_mul_f64_e32 v[49:50], s[16:17], v[49:50]
	s_delay_alu instid0(VALU_DEP_3) | instskip(NEXT) | instid1(VALU_DEP_1)
	v_lshlrev_b64_e32 v[141:142], 4, v[141:142]
	v_add_co_u32 v141, vcc_lo, v30, v141
	s_wait_alu 0xfffd
	s_delay_alu instid0(VALU_DEP_2) | instskip(SKIP_3) | instid1(VALU_DEP_2)
	v_add_co_ci_u32_e32 v142, vcc_lo, v31, v142, vcc_lo
	global_store_b128 v[141:142], v[2:5], off
	v_mul_f64_e32 v[141:142], s[18:19], v[41:42]
	v_fma_f64 v[4:5], v[55:56], s[6:7], -v[147:148]
	v_fma_f64 v[2:3], v[39:40], s[12:13], -v[141:142]
	s_delay_alu instid0(VALU_DEP_1) | instskip(NEXT) | instid1(VALU_DEP_1)
	v_add_f64_e32 v[2:3], v[0:1], v[2:3]
	v_add_f64_e32 v[2:3], v[4:5], v[2:3]
	v_fma_f64 v[4:5], v[36:37], s[12:13], v[149:150]
	s_delay_alu instid0(VALU_DEP_1) | instskip(NEXT) | instid1(VALU_DEP_1)
	v_add_f64_e32 v[4:5], v[94:95], v[4:5]
	v_add_f64_e32 v[4:5], v[153:154], v[4:5]
	v_fma_f64 v[153:154], v[45:46], s[0:1], -v[63:64]
	s_delay_alu instid0(VALU_DEP_1) | instskip(SKIP_1) | instid1(VALU_DEP_1)
	v_add_f64_e32 v[2:3], v[153:154], v[2:3]
	v_fma_f64 v[153:154], v[53:54], s[0:1], v[69:70]
	v_add_f64_e32 v[4:5], v[153:154], v[4:5]
	v_mul_f64_e32 v[153:154], s[26:27], v[12:13]
	s_delay_alu instid0(VALU_DEP_1) | instskip(NEXT) | instid1(VALU_DEP_1)
	v_fma_f64 v[155:156], v[43:44], s[4:5], -v[153:154]
	v_add_f64_e32 v[2:3], v[155:156], v[2:3]
	v_mul_f64_e32 v[155:156], s[26:27], v[8:9]
	s_mov_b32 s27, 0x3fcea1e5
	s_mov_b32 s26, s24
	s_delay_alu instid0(VALU_DEP_1) | instskip(NEXT) | instid1(VALU_DEP_1)
	v_fma_f64 v[157:158], v[57:58], s[4:5], v[155:156]
	v_add_f64_e32 v[4:5], v[157:158], v[4:5]
	s_wait_alu 0xfffe
	v_mul_f64_e32 v[157:158], s[26:27], v[34:35]
	v_mul_f64_e32 v[34:35], s[18:19], v[34:35]
	s_delay_alu instid0(VALU_DEP_2) | instskip(NEXT) | instid1(VALU_DEP_1)
	v_fma_f64 v[159:160], v[24:25], s[10:11], -v[157:158]
	v_add_f64_e32 v[2:3], v[159:160], v[2:3]
	v_mul_f64_e32 v[159:160], s[26:27], v[32:33]
	v_mul_f64_e32 v[32:33], s[18:19], v[32:33]
	s_delay_alu instid0(VALU_DEP_2) | instskip(NEXT) | instid1(VALU_DEP_1)
	v_fma_f64 v[161:162], v[20:21], s[10:11], v[159:160]
	v_add_f64_e32 v[161:162], v[161:162], v[4:5]
	v_fma_f64 v[4:5], v[22:23], s[2:3], -v[163:164]
	s_delay_alu instid0(VALU_DEP_1) | instskip(SKIP_1) | instid1(VALU_DEP_1)
	v_add_f64_e32 v[4:5], v[4:5], v[2:3]
	v_fma_f64 v[2:3], v[18:19], s[2:3], v[165:166]
	v_add_f64_e32 v[2:3], v[2:3], v[161:162]
	v_mad_co_u64_u32 v[161:162], null, s8, v93, 0
	s_delay_alu instid0(VALU_DEP_1) | instskip(NEXT) | instid1(VALU_DEP_1)
	v_mov_b32_e32 v38, v162
	v_mad_co_u64_u32 v[167:168], null, s9, v93, v[38:39]
	s_delay_alu instid0(VALU_DEP_1) | instskip(SKIP_2) | instid1(VALU_DEP_3)
	v_dual_mov_b32 v162, v167 :: v_dual_add_nc_u32 v93, 0x55, v96
	v_mul_f64_e32 v[167:168], s[22:23], v[16:17]
	v_mul_f64_e32 v[16:17], s[24:25], v[16:17]
	v_lshlrev_b64_e32 v[161:162], 4, v[161:162]
	s_delay_alu instid0(VALU_DEP_1) | instskip(SKIP_1) | instid1(VALU_DEP_2)
	v_add_co_u32 v161, vcc_lo, v30, v161
	s_wait_alu 0xfffd
	v_add_co_ci_u32_e32 v162, vcc_lo, v31, v162, vcc_lo
	global_store_b128 v[161:162], v[2:5], off
	v_mul_f64_e32 v[161:162], s[22:23], v[41:42]
	v_fma_f64 v[4:5], v[55:56], s[4:5], -v[49:50]
	v_mul_f64_e32 v[41:42], s[24:25], v[41:42]
	s_delay_alu instid0(VALU_DEP_3) | instskip(NEXT) | instid1(VALU_DEP_1)
	v_fma_f64 v[2:3], v[39:40], s[6:7], -v[161:162]
	v_add_f64_e32 v[2:3], v[0:1], v[2:3]
	s_delay_alu instid0(VALU_DEP_1) | instskip(SKIP_1) | instid1(VALU_DEP_1)
	v_add_f64_e32 v[2:3], v[4:5], v[2:3]
	v_fma_f64 v[4:5], v[36:37], s[6:7], v[167:168]
	v_add_f64_e32 v[4:5], v[94:95], v[4:5]
	s_delay_alu instid0(VALU_DEP_1) | instskip(SKIP_2) | instid1(VALU_DEP_2)
	v_add_f64_e32 v[4:5], v[169:170], v[4:5]
	v_mul_f64_e32 v[169:170], s[20:21], v[26:27]
	v_mul_f64_e32 v[26:27], s[22:23], v[26:27]
	v_fma_f64 v[171:172], v[45:46], s[2:3], -v[169:170]
	s_delay_alu instid0(VALU_DEP_1) | instskip(SKIP_2) | instid1(VALU_DEP_2)
	v_add_f64_e32 v[2:3], v[171:172], v[2:3]
	v_mul_f64_e32 v[171:172], s[20:21], v[10:11]
	v_mul_f64_e32 v[10:11], s[22:23], v[10:11]
	v_fma_f64 v[173:174], v[53:54], s[2:3], v[171:172]
	s_delay_alu instid0(VALU_DEP_1) | instskip(SKIP_2) | instid1(VALU_DEP_2)
	v_add_f64_e32 v[4:5], v[173:174], v[4:5]
	v_mul_f64_e32 v[173:174], s[26:27], v[12:13]
	v_mul_f64_e32 v[12:13], s[14:15], v[12:13]
	v_fma_f64 v[175:176], v[43:44], s[10:11], -v[173:174]
	s_delay_alu instid0(VALU_DEP_1) | instskip(SKIP_2) | instid1(VALU_DEP_2)
	v_add_f64_e32 v[2:3], v[175:176], v[2:3]
	v_mul_f64_e32 v[175:176], s[26:27], v[8:9]
	v_mul_f64_e32 v[8:9], s[14:15], v[8:9]
	v_fma_f64 v[177:178], v[57:58], s[10:11], v[175:176]
	s_delay_alu instid0(VALU_DEP_1) | instskip(SKIP_1) | instid1(VALU_DEP_1)
	v_add_f64_e32 v[4:5], v[177:178], v[4:5]
	v_fma_f64 v[177:178], v[24:25], s[0:1], -v[59:60]
	v_add_f64_e32 v[2:3], v[177:178], v[2:3]
	v_fma_f64 v[177:178], v[20:21], s[0:1], v[61:62]
	s_delay_alu instid0(VALU_DEP_1) | instskip(SKIP_1) | instid1(VALU_DEP_1)
	v_add_f64_e32 v[177:178], v[177:178], v[4:5]
	v_fma_f64 v[4:5], v[22:23], s[12:13], -v[179:180]
	v_add_f64_e32 v[4:5], v[4:5], v[2:3]
	v_fma_f64 v[2:3], v[18:19], s[12:13], v[181:182]
	s_delay_alu instid0(VALU_DEP_1) | instskip(SKIP_1) | instid1(VALU_DEP_1)
	v_add_f64_e32 v[2:3], v[2:3], v[177:178]
	v_mad_co_u64_u32 v[177:178], null, s8, v93, 0
	v_mov_b32_e32 v38, v178
	s_delay_alu instid0(VALU_DEP_1) | instskip(NEXT) | instid1(VALU_DEP_1)
	v_mad_co_u64_u32 v[183:184], null, s9, v93, v[38:39]
	v_mov_b32_e32 v178, v183
	s_delay_alu instid0(VALU_DEP_1) | instskip(NEXT) | instid1(VALU_DEP_1)
	v_lshlrev_b64_e32 v[177:178], 4, v[177:178]
	v_add_co_u32 v177, vcc_lo, v30, v177
	s_wait_alu 0xfffd
	s_delay_alu instid0(VALU_DEP_2)
	v_add_co_ci_u32_e32 v178, vcc_lo, v31, v178, vcc_lo
	global_store_b128 v[177:178], v[2:5], off
	v_fma_f64 v[2:3], v[39:40], s[10:11], -v[41:42]
	v_fma_f64 v[4:5], v[55:56], s[0:1], -v[6:7]
	v_fma_f64 v[177:178], v[47:48], s[0:1], v[67:68]
	v_fma_f64 v[41:42], v[39:40], s[10:11], v[41:42]
	;; [unrolled: 1-line block ×3, first 2 shown]
	v_add_f64_e32 v[2:3], v[0:1], v[2:3]
	s_delay_alu instid0(VALU_DEP_3) | instskip(NEXT) | instid1(VALU_DEP_2)
	v_add_f64_e32 v[41:42], v[0:1], v[41:42]
	v_add_f64_e32 v[2:3], v[4:5], v[2:3]
	v_fma_f64 v[4:5], v[36:37], s[10:11], v[16:17]
	v_fma_f64 v[16:17], v[36:37], s[10:11], -v[16:17]
	s_delay_alu instid0(VALU_DEP_4) | instskip(SKIP_1) | instid1(VALU_DEP_4)
	v_add_f64_e32 v[6:7], v[6:7], v[41:42]
	v_fma_f64 v[41:42], v[47:48], s[0:1], -v[67:68]
	v_add_f64_e32 v[4:5], v[94:95], v[4:5]
	s_delay_alu instid0(VALU_DEP_4) | instskip(NEXT) | instid1(VALU_DEP_2)
	v_add_f64_e32 v[16:17], v[94:95], v[16:17]
	v_add_f64_e32 v[4:5], v[177:178], v[4:5]
	v_fma_f64 v[177:178], v[45:46], s[6:7], -v[26:27]
	s_delay_alu instid0(VALU_DEP_3) | instskip(SKIP_1) | instid1(VALU_DEP_3)
	v_add_f64_e32 v[16:17], v[41:42], v[16:17]
	v_fma_f64 v[26:27], v[45:46], s[6:7], v[26:27]
	v_add_f64_e32 v[2:3], v[177:178], v[2:3]
	v_fma_f64 v[177:178], v[53:54], s[6:7], v[10:11]
	v_fma_f64 v[10:11], v[53:54], s[6:7], -v[10:11]
	s_delay_alu instid0(VALU_DEP_4) | instskip(SKIP_1) | instid1(VALU_DEP_4)
	v_add_f64_e32 v[6:7], v[26:27], v[6:7]
	v_fma_f64 v[26:27], v[47:48], s[6:7], -v[151:152]
	v_add_f64_e32 v[4:5], v[177:178], v[4:5]
	v_fma_f64 v[177:178], v[43:44], s[2:3], -v[12:13]
	v_add_f64_e32 v[10:11], v[10:11], v[16:17]
	v_fma_f64 v[12:13], v[43:44], s[2:3], v[12:13]
	v_fma_f64 v[16:17], v[18:19], s[12:13], -v[181:182]
	s_delay_alu instid0(VALU_DEP_4) | instskip(SKIP_4) | instid1(VALU_DEP_4)
	v_add_f64_e32 v[2:3], v[177:178], v[2:3]
	v_fma_f64 v[177:178], v[57:58], s[2:3], v[8:9]
	v_fma_f64 v[8:9], v[57:58], s[2:3], -v[8:9]
	v_add_f64_e32 v[6:7], v[12:13], v[6:7]
	v_fma_f64 v[12:13], v[18:19], s[4:5], -v[51:52]
	v_add_f64_e32 v[4:5], v[177:178], v[4:5]
	s_delay_alu instid0(VALU_DEP_4) | instskip(SKIP_3) | instid1(VALU_DEP_3)
	v_add_f64_e32 v[8:9], v[8:9], v[10:11]
	v_fma_f64 v[10:11], v[24:25], s[12:13], v[34:35]
	v_fma_f64 v[177:178], v[24:25], s[12:13], -v[34:35]
	v_fma_f64 v[34:35], v[36:37], s[4:5], -v[129:130]
	v_add_f64_e32 v[6:7], v[10:11], v[6:7]
	v_fma_f64 v[10:11], v[20:21], s[12:13], -v[32:33]
	s_delay_alu instid0(VALU_DEP_4) | instskip(SKIP_2) | instid1(VALU_DEP_4)
	v_add_f64_e32 v[2:3], v[177:178], v[2:3]
	v_fma_f64 v[177:178], v[20:21], s[12:13], v[32:33]
	v_fma_f64 v[32:33], v[39:40], s[0:1], v[77:78]
	v_add_f64_e32 v[10:11], v[10:11], v[8:9]
	v_fma_f64 v[8:9], v[22:23], s[4:5], v[28:29]
	s_delay_alu instid0(VALU_DEP_4) | instskip(SKIP_2) | instid1(VALU_DEP_4)
	v_add_f64_e32 v[177:178], v[177:178], v[4:5]
	v_fma_f64 v[4:5], v[22:23], s[4:5], -v[28:29]
	v_fma_f64 v[28:29], v[18:19], s[2:3], -v[165:166]
	v_add_f64_e32 v[8:9], v[8:9], v[6:7]
	v_add_f64_e32 v[6:7], v[12:13], v[10:11]
	v_fma_f64 v[10:11], v[39:40], s[6:7], v[161:162]
	v_fma_f64 v[12:13], v[55:56], s[4:5], v[49:50]
	v_add_f64_e32 v[4:5], v[4:5], v[2:3]
	v_fma_f64 v[2:3], v[18:19], s[4:5], v[51:52]
	v_fma_f64 v[49:50], v[55:56], s[12:13], v[107:108]
	;; [unrolled: 1-line block ×3, first 2 shown]
	v_add_f64_e32 v[10:11], v[0:1], v[10:11]
	s_delay_alu instid0(VALU_DEP_4) | instskip(NEXT) | instid1(VALU_DEP_2)
	v_add_f64_e32 v[2:3], v[2:3], v[177:178]
	v_add_f64_e32 v[10:11], v[12:13], v[10:11]
	v_fma_f64 v[12:13], v[36:37], s[6:7], -v[167:168]
	s_delay_alu instid0(VALU_DEP_1) | instskip(NEXT) | instid1(VALU_DEP_1)
	v_add_f64_e32 v[12:13], v[94:95], v[12:13]
	v_add_f64_e32 v[12:13], v[14:15], v[12:13]
	v_fma_f64 v[14:15], v[45:46], s[2:3], v[169:170]
	s_delay_alu instid0(VALU_DEP_1) | instskip(SKIP_1) | instid1(VALU_DEP_1)
	v_add_f64_e32 v[10:11], v[14:15], v[10:11]
	v_fma_f64 v[14:15], v[53:54], s[2:3], -v[171:172]
	v_add_f64_e32 v[12:13], v[14:15], v[12:13]
	v_fma_f64 v[14:15], v[43:44], s[10:11], v[173:174]
	s_delay_alu instid0(VALU_DEP_1) | instskip(SKIP_1) | instid1(VALU_DEP_1)
	v_add_f64_e32 v[10:11], v[14:15], v[10:11]
	v_fma_f64 v[14:15], v[57:58], s[10:11], -v[175:176]
	v_add_f64_e32 v[12:13], v[14:15], v[12:13]
	v_fma_f64 v[14:15], v[24:25], s[0:1], v[59:60]
	v_fma_f64 v[59:60], v[47:48], s[12:13], -v[111:112]
	s_delay_alu instid0(VALU_DEP_2) | instskip(SKIP_2) | instid1(VALU_DEP_2)
	v_add_f64_e32 v[10:11], v[14:15], v[10:11]
	v_fma_f64 v[14:15], v[20:21], s[0:1], -v[61:62]
	v_fma_f64 v[61:62], v[45:46], s[10:11], v[113:114]
	v_add_f64_e32 v[14:15], v[14:15], v[12:13]
	v_fma_f64 v[12:13], v[22:23], s[12:13], v[179:180]
	s_delay_alu instid0(VALU_DEP_1) | instskip(NEXT) | instid1(VALU_DEP_3)
	v_add_f64_e32 v[12:13], v[12:13], v[10:11]
	v_add_f64_e32 v[10:11], v[16:17], v[14:15]
	v_fma_f64 v[14:15], v[39:40], s[12:13], v[141:142]
	v_fma_f64 v[16:17], v[55:56], s[6:7], v[147:148]
	s_delay_alu instid0(VALU_DEP_2) | instskip(NEXT) | instid1(VALU_DEP_1)
	v_add_f64_e32 v[14:15], v[0:1], v[14:15]
	v_add_f64_e32 v[14:15], v[16:17], v[14:15]
	v_fma_f64 v[16:17], v[36:37], s[12:13], -v[149:150]
	s_delay_alu instid0(VALU_DEP_1) | instskip(NEXT) | instid1(VALU_DEP_1)
	v_add_f64_e32 v[16:17], v[94:95], v[16:17]
	v_add_f64_e32 v[16:17], v[26:27], v[16:17]
	v_fma_f64 v[26:27], v[45:46], s[0:1], v[63:64]
	s_delay_alu instid0(VALU_DEP_1) | instskip(SKIP_1) | instid1(VALU_DEP_1)
	v_add_f64_e32 v[14:15], v[26:27], v[14:15]
	v_fma_f64 v[26:27], v[53:54], s[0:1], -v[69:70]
	v_add_f64_e32 v[16:17], v[26:27], v[16:17]
	v_fma_f64 v[26:27], v[43:44], s[4:5], v[153:154]
	s_delay_alu instid0(VALU_DEP_1) | instskip(SKIP_1) | instid1(VALU_DEP_1)
	v_add_f64_e32 v[14:15], v[26:27], v[14:15]
	v_fma_f64 v[26:27], v[57:58], s[4:5], -v[155:156]
	;; [unrolled: 5-line block ×3, first 2 shown]
	v_add_f64_e32 v[26:27], v[26:27], v[16:17]
	v_fma_f64 v[16:17], v[22:23], s[2:3], v[163:164]
	s_delay_alu instid0(VALU_DEP_1) | instskip(NEXT) | instid1(VALU_DEP_3)
	v_add_f64_e32 v[16:17], v[16:17], v[14:15]
	v_add_f64_e32 v[14:15], v[28:29], v[26:27]
	v_fma_f64 v[26:27], v[39:40], s[4:5], v[125:126]
	v_fma_f64 v[28:29], v[39:40], s[2:3], v[101:102]
	v_fma_f64 v[38:39], v[36:37], s[2:3], -v[109:110]
	v_fma_f64 v[36:37], v[36:37], s[0:1], -v[81:82]
	v_fma_f64 v[40:41], v[55:56], s[10:11], v[127:128]
	v_fma_f64 v[55:56], v[47:48], s[10:11], -v[131:132]
	v_fma_f64 v[47:48], v[47:48], s[2:3], -v[83:84]
	v_add_f64_e32 v[26:27], v[0:1], v[26:27]
	v_add_f64_e32 v[28:29], v[0:1], v[28:29]
	;; [unrolled: 1-line block ×6, first 2 shown]
	v_fma_f64 v[38:39], v[45:46], s[12:13], v[133:134]
	v_fma_f64 v[45:46], v[45:46], s[4:5], v[85:86]
	v_add_f64_e32 v[26:27], v[40:41], v[26:27]
	v_add_f64_e32 v[28:29], v[49:50], v[28:29]
	v_fma_f64 v[40:41], v[53:54], s[12:13], -v[135:136]
	v_add_f64_e32 v[32:33], v[55:56], v[32:33]
	v_add_f64_e32 v[34:35], v[59:60], v[34:35]
	v_fma_f64 v[49:50], v[53:54], s[10:11], -v[115:116]
	v_add_f64_e32 v[0:1], v[51:52], v[0:1]
	v_fma_f64 v[53:54], v[53:54], s[4:5], -v[87:88]
	v_add_f64_e32 v[36:37], v[47:48], v[36:37]
	v_fma_f64 v[47:48], v[43:44], s[0:1], v[65:66]
	v_fma_f64 v[51:52], v[43:44], s[6:7], v[117:118]
	;; [unrolled: 1-line block ×3, first 2 shown]
	v_add_f64_e32 v[26:27], v[38:39], v[26:27]
	v_fma_f64 v[38:39], v[57:58], s[0:1], -v[71:72]
	v_add_f64_e32 v[28:29], v[61:62], v[28:29]
	v_add_f64_e32 v[32:33], v[40:41], v[32:33]
	v_fma_f64 v[40:41], v[57:58], s[6:7], -v[119:120]
	v_add_f64_e32 v[34:35], v[49:50], v[34:35]
	;; [unrolled: 3-line block ×3, first 2 shown]
	v_fma_f64 v[44:45], v[24:25], s[2:3], v[137:138]
	v_fma_f64 v[53:54], v[24:25], s[4:5], v[121:122]
	;; [unrolled: 1-line block ×3, first 2 shown]
	v_add_f64_e32 v[26:27], v[47:48], v[26:27]
	v_fma_f64 v[46:47], v[22:23], s[0:1], v[73:74]
	v_add_f64_e32 v[28:29], v[51:52], v[28:29]
	v_add_f64_e32 v[32:33], v[38:39], v[32:33]
	v_fma_f64 v[38:39], v[20:21], s[2:3], -v[139:140]
	v_add_f64_e32 v[34:35], v[40:41], v[34:35]
	v_fma_f64 v[40:41], v[20:21], s[4:5], -v[123:124]
	;; [unrolled: 2-line block ×3, first 2 shown]
	v_add_f64_e32 v[36:37], v[49:50], v[36:37]
	v_fma_f64 v[42:43], v[22:23], s[6:7], v[143:144]
	v_fma_f64 v[48:49], v[22:23], s[10:11], v[103:104]
	v_add_f64_e32 v[22:23], v[44:45], v[26:27]
	v_add_nc_u32_e32 v44, 0x66, v96
	v_add_f64_e32 v[28:29], v[53:54], v[28:29]
	v_add_f64_e32 v[26:27], v[38:39], v[32:33]
	v_fma_f64 v[38:39], v[18:19], s[0:1], -v[75:76]
	v_add_f64_e32 v[32:33], v[40:41], v[34:35]
	v_fma_f64 v[34:35], v[18:19], s[6:7], -v[145:146]
	;; [unrolled: 2-line block ×3, first 2 shown]
	v_add_f64_e32 v[36:37], v[20:21], v[36:37]
	v_add_f64_e32 v[20:21], v[42:43], v[22:23]
	v_add_nc_u32_e32 v42, 0x77, v96
	v_add_nc_u32_e32 v43, 0x88, v96
	v_add_f64_e32 v[24:25], v[46:47], v[28:29]
	v_add_f64_e32 v[22:23], v[38:39], v[32:33]
	;; [unrolled: 1-line block ×3, first 2 shown]
	v_mad_co_u64_u32 v[34:35], null, s8, v44, 0
	v_mad_co_u64_u32 v[32:33], null, s8, v42, 0
	v_mad_co_u64_u32 v[38:39], null, s8, v43, 0
	v_add_f64_e32 v[28:29], v[48:49], v[0:1]
	v_add_f64_e32 v[26:27], v[40:41], v[36:37]
	s_delay_alu instid0(VALU_DEP_4) | instskip(NEXT) | instid1(VALU_DEP_1)
	v_dual_mov_b32 v0, v35 :: v_dual_mov_b32 v1, v33
	v_mad_co_u64_u32 v[35:36], null, s9, v44, v[0:1]
	v_mad_co_u64_u32 v[0:1], null, s9, v42, v[1:2]
	v_dual_mov_b32 v1, v39 :: v_dual_add_nc_u32 v42, 0xbb, v96
	v_add_nc_u32_e32 v44, 0xcc, v96
	s_delay_alu instid0(VALU_DEP_4) | instskip(NEXT) | instid1(VALU_DEP_3)
	v_lshlrev_b64_e32 v[34:35], 4, v[34:35]
	v_mad_co_u64_u32 v[36:37], null, s9, v43, v[1:2]
	v_add_nc_u32_e32 v1, 0x99, v96
	v_mov_b32_e32 v33, v0
	s_delay_alu instid0(VALU_DEP_4) | instskip(NEXT) | instid1(VALU_DEP_3)
	v_add_co_u32 v34, vcc_lo, v30, v34
	v_mad_co_u64_u32 v[40:41], null, s8, v1, 0
	v_mov_b32_e32 v39, v36
	s_delay_alu instid0(VALU_DEP_4) | instskip(SKIP_2) | instid1(VALU_DEP_3)
	v_lshlrev_b64_e32 v[32:33], 4, v[32:33]
	s_wait_alu 0xfffd
	v_add_co_ci_u32_e32 v35, vcc_lo, v31, v35, vcc_lo
	v_lshlrev_b64_e32 v[38:39], 4, v[38:39]
	v_mov_b32_e32 v0, v41
	s_delay_alu instid0(VALU_DEP_4) | instskip(SKIP_2) | instid1(VALU_DEP_3)
	v_add_co_u32 v32, vcc_lo, v30, v32
	s_wait_alu 0xfffd
	v_add_co_ci_u32_e32 v33, vcc_lo, v31, v33, vcc_lo
	v_mad_co_u64_u32 v[0:1], null, s9, v1, v[0:1]
	v_add_nc_u32_e32 v1, 0xaa, v96
	v_add_co_u32 v38, vcc_lo, v30, v38
	s_wait_alu 0xfffd
	v_add_co_ci_u32_e32 v39, vcc_lo, v31, v39, vcc_lo
	s_delay_alu instid0(VALU_DEP_3) | instskip(SKIP_1) | instid1(VALU_DEP_1)
	v_mad_co_u64_u32 v[36:37], null, s8, v1, 0
	v_mov_b32_e32 v41, v0
	v_lshlrev_b64_e32 v[40:41], 4, v[40:41]
	s_delay_alu instid0(VALU_DEP_3) | instskip(NEXT) | instid1(VALU_DEP_1)
	v_mov_b32_e32 v0, v37
	v_mad_co_u64_u32 v[0:1], null, s9, v1, v[0:1]
	s_delay_alu instid0(VALU_DEP_3) | instskip(SKIP_1) | instid1(VALU_DEP_4)
	v_add_co_u32 v40, vcc_lo, v30, v40
	s_wait_alu 0xfffd
	v_add_co_ci_u32_e32 v41, vcc_lo, v31, v41, vcc_lo
	s_delay_alu instid0(VALU_DEP_3) | instskip(SKIP_1) | instid1(VALU_DEP_2)
	v_mov_b32_e32 v37, v0
	v_mad_co_u64_u32 v[0:1], null, s8, v42, 0
	v_lshlrev_b64_e32 v[36:37], 4, v[36:37]
	s_delay_alu instid0(VALU_DEP_2) | instskip(NEXT) | instid1(VALU_DEP_2)
	v_mad_co_u64_u32 v[42:43], null, s9, v42, v[1:2]
	v_add_co_u32 v36, vcc_lo, v30, v36
	s_wait_alu 0xfffd
	s_delay_alu instid0(VALU_DEP_3) | instskip(NEXT) | instid1(VALU_DEP_3)
	v_add_co_ci_u32_e32 v37, vcc_lo, v31, v37, vcc_lo
	v_mov_b32_e32 v1, v42
	v_mad_co_u64_u32 v[42:43], null, s8, v44, 0
	s_delay_alu instid0(VALU_DEP_2) | instskip(NEXT) | instid1(VALU_DEP_2)
	v_lshlrev_b64_e32 v[0:1], 4, v[0:1]
	v_mad_co_u64_u32 v[43:44], null, s9, v44, v[43:44]
	s_delay_alu instid0(VALU_DEP_2) | instskip(SKIP_1) | instid1(VALU_DEP_3)
	v_add_co_u32 v0, vcc_lo, v30, v0
	s_wait_alu 0xfffd
	v_add_co_ci_u32_e32 v1, vcc_lo, v31, v1, vcc_lo
	s_delay_alu instid0(VALU_DEP_3) | instskip(NEXT) | instid1(VALU_DEP_1)
	v_lshlrev_b64_e32 v[42:43], 4, v[42:43]
	v_add_co_u32 v30, vcc_lo, v30, v42
	s_wait_alu 0xfffd
	s_delay_alu instid0(VALU_DEP_2)
	v_add_co_ci_u32_e32 v31, vcc_lo, v31, v43, vcc_lo
	s_clause 0x6
	global_store_b128 v[34:35], v[2:5], off
	global_store_b128 v[32:33], v[6:9], off
	;; [unrolled: 1-line block ×7, first 2 shown]
.LBB0_18:
	s_nop 0
	s_sendmsg sendmsg(MSG_DEALLOC_VGPRS)
	s_endpgm
	.section	.rodata,"a",@progbits
	.p2align	6, 0x0
	.amdhsa_kernel fft_rtc_back_len221_factors_17_13_wgs_119_tpt_17_halfLds_dp_ip_CI_sbrr_dirReg
		.amdhsa_group_segment_fixed_size 0
		.amdhsa_private_segment_fixed_size 0
		.amdhsa_kernarg_size 88
		.amdhsa_user_sgpr_count 2
		.amdhsa_user_sgpr_dispatch_ptr 0
		.amdhsa_user_sgpr_queue_ptr 0
		.amdhsa_user_sgpr_kernarg_segment_ptr 1
		.amdhsa_user_sgpr_dispatch_id 0
		.amdhsa_user_sgpr_private_segment_size 0
		.amdhsa_wavefront_size32 1
		.amdhsa_uses_dynamic_stack 0
		.amdhsa_enable_private_segment 0
		.amdhsa_system_sgpr_workgroup_id_x 1
		.amdhsa_system_sgpr_workgroup_id_y 0
		.amdhsa_system_sgpr_workgroup_id_z 0
		.amdhsa_system_sgpr_workgroup_info 0
		.amdhsa_system_vgpr_workitem_id 0
		.amdhsa_next_free_vgpr 229
		.amdhsa_next_free_sgpr 58
		.amdhsa_reserve_vcc 1
		.amdhsa_float_round_mode_32 0
		.amdhsa_float_round_mode_16_64 0
		.amdhsa_float_denorm_mode_32 3
		.amdhsa_float_denorm_mode_16_64 3
		.amdhsa_fp16_overflow 0
		.amdhsa_workgroup_processor_mode 1
		.amdhsa_memory_ordered 1
		.amdhsa_forward_progress 0
		.amdhsa_round_robin_scheduling 0
		.amdhsa_exception_fp_ieee_invalid_op 0
		.amdhsa_exception_fp_denorm_src 0
		.amdhsa_exception_fp_ieee_div_zero 0
		.amdhsa_exception_fp_ieee_overflow 0
		.amdhsa_exception_fp_ieee_underflow 0
		.amdhsa_exception_fp_ieee_inexact 0
		.amdhsa_exception_int_div_zero 0
	.end_amdhsa_kernel
	.text
.Lfunc_end0:
	.size	fft_rtc_back_len221_factors_17_13_wgs_119_tpt_17_halfLds_dp_ip_CI_sbrr_dirReg, .Lfunc_end0-fft_rtc_back_len221_factors_17_13_wgs_119_tpt_17_halfLds_dp_ip_CI_sbrr_dirReg
                                        ; -- End function
	.section	.AMDGPU.csdata,"",@progbits
; Kernel info:
; codeLenInByte = 12152
; NumSgprs: 60
; NumVgprs: 229
; ScratchSize: 0
; MemoryBound: 1
; FloatMode: 240
; IeeeMode: 1
; LDSByteSize: 0 bytes/workgroup (compile time only)
; SGPRBlocks: 7
; VGPRBlocks: 28
; NumSGPRsForWavesPerEU: 60
; NumVGPRsForWavesPerEU: 229
; Occupancy: 6
; WaveLimiterHint : 1
; COMPUTE_PGM_RSRC2:SCRATCH_EN: 0
; COMPUTE_PGM_RSRC2:USER_SGPR: 2
; COMPUTE_PGM_RSRC2:TRAP_HANDLER: 0
; COMPUTE_PGM_RSRC2:TGID_X_EN: 1
; COMPUTE_PGM_RSRC2:TGID_Y_EN: 0
; COMPUTE_PGM_RSRC2:TGID_Z_EN: 0
; COMPUTE_PGM_RSRC2:TIDIG_COMP_CNT: 0
	.text
	.p2alignl 7, 3214868480
	.fill 96, 4, 3214868480
	.type	__hip_cuid_74a8e3f8a2051051,@object ; @__hip_cuid_74a8e3f8a2051051
	.section	.bss,"aw",@nobits
	.globl	__hip_cuid_74a8e3f8a2051051
__hip_cuid_74a8e3f8a2051051:
	.byte	0                               ; 0x0
	.size	__hip_cuid_74a8e3f8a2051051, 1

	.ident	"AMD clang version 19.0.0git (https://github.com/RadeonOpenCompute/llvm-project roc-6.4.0 25133 c7fe45cf4b819c5991fe208aaa96edf142730f1d)"
	.section	".note.GNU-stack","",@progbits
	.addrsig
	.addrsig_sym __hip_cuid_74a8e3f8a2051051
	.amdgpu_metadata
---
amdhsa.kernels:
  - .args:
      - .actual_access:  read_only
        .address_space:  global
        .offset:         0
        .size:           8
        .value_kind:     global_buffer
      - .offset:         8
        .size:           8
        .value_kind:     by_value
      - .actual_access:  read_only
        .address_space:  global
        .offset:         16
        .size:           8
        .value_kind:     global_buffer
      - .actual_access:  read_only
        .address_space:  global
        .offset:         24
        .size:           8
        .value_kind:     global_buffer
      - .offset:         32
        .size:           8
        .value_kind:     by_value
      - .actual_access:  read_only
        .address_space:  global
        .offset:         40
        .size:           8
        .value_kind:     global_buffer
      - .actual_access:  read_only
        .address_space:  global
        .offset:         48
        .size:           8
        .value_kind:     global_buffer
      - .offset:         56
        .size:           4
        .value_kind:     by_value
      - .actual_access:  read_only
        .address_space:  global
        .offset:         64
        .size:           8
        .value_kind:     global_buffer
      - .actual_access:  read_only
        .address_space:  global
        .offset:         72
        .size:           8
        .value_kind:     global_buffer
      - .address_space:  global
        .offset:         80
        .size:           8
        .value_kind:     global_buffer
    .group_segment_fixed_size: 0
    .kernarg_segment_align: 8
    .kernarg_segment_size: 88
    .language:       OpenCL C
    .language_version:
      - 2
      - 0
    .max_flat_workgroup_size: 119
    .name:           fft_rtc_back_len221_factors_17_13_wgs_119_tpt_17_halfLds_dp_ip_CI_sbrr_dirReg
    .private_segment_fixed_size: 0
    .sgpr_count:     60
    .sgpr_spill_count: 0
    .symbol:         fft_rtc_back_len221_factors_17_13_wgs_119_tpt_17_halfLds_dp_ip_CI_sbrr_dirReg.kd
    .uniform_work_group_size: 1
    .uses_dynamic_stack: false
    .vgpr_count:     229
    .vgpr_spill_count: 0
    .wavefront_size: 32
    .workgroup_processor_mode: 1
amdhsa.target:   amdgcn-amd-amdhsa--gfx1201
amdhsa.version:
  - 1
  - 2
...

	.end_amdgpu_metadata
